;; amdgpu-corpus repo=ROCm/rocFFT kind=compiled arch=gfx1100 opt=O3
	.text
	.amdgcn_target "amdgcn-amd-amdhsa--gfx1100"
	.amdhsa_code_object_version 6
	.protected	fft_rtc_fwd_len450_factors_10_5_3_3_wgs_120_tpt_30_halfLds_dp_op_CI_CI_unitstride_sbrr_R2C_dirReg ; -- Begin function fft_rtc_fwd_len450_factors_10_5_3_3_wgs_120_tpt_30_halfLds_dp_op_CI_CI_unitstride_sbrr_R2C_dirReg
	.globl	fft_rtc_fwd_len450_factors_10_5_3_3_wgs_120_tpt_30_halfLds_dp_op_CI_CI_unitstride_sbrr_R2C_dirReg
	.p2align	8
	.type	fft_rtc_fwd_len450_factors_10_5_3_3_wgs_120_tpt_30_halfLds_dp_op_CI_CI_unitstride_sbrr_R2C_dirReg,@function
fft_rtc_fwd_len450_factors_10_5_3_3_wgs_120_tpt_30_halfLds_dp_op_CI_CI_unitstride_sbrr_R2C_dirReg: ; @fft_rtc_fwd_len450_factors_10_5_3_3_wgs_120_tpt_30_halfLds_dp_op_CI_CI_unitstride_sbrr_R2C_dirReg
; %bb.0:
	s_clause 0x2
	s_load_b128 s[8:11], s[0:1], 0x0
	s_load_b128 s[4:7], s[0:1], 0x58
	;; [unrolled: 1-line block ×3, first 2 shown]
	v_mul_u32_u24_e32 v1, 0x889, v0
	v_mov_b32_e32 v3, 0
	s_delay_alu instid0(VALU_DEP_2) | instskip(SKIP_2) | instid1(VALU_DEP_4)
	v_lshrrev_b32_e32 v7, 16, v1
	v_mov_b32_e32 v1, 0
	v_mov_b32_e32 v2, 0
	;; [unrolled: 1-line block ×3, first 2 shown]
	s_delay_alu instid0(VALU_DEP_4) | instskip(SKIP_2) | instid1(VALU_DEP_1)
	v_lshl_add_u32 v5, s15, 2, v7
	s_waitcnt lgkmcnt(0)
	v_cmp_lt_u64_e64 s2, s[10:11], 2
	s_and_b32 vcc_lo, exec_lo, s2
	s_cbranch_vccnz .LBB0_8
; %bb.1:
	s_load_b64 s[2:3], s[0:1], 0x10
	v_mov_b32_e32 v1, 0
	v_mov_b32_e32 v2, 0
	s_add_u32 s12, s18, 8
	s_addc_u32 s13, s19, 0
	s_add_u32 s14, s16, 8
	s_addc_u32 s15, s17, 0
	v_dual_mov_b32 v49, v2 :: v_dual_mov_b32 v48, v1
	s_mov_b64 s[22:23], 1
	s_waitcnt lgkmcnt(0)
	s_add_u32 s20, s2, 8
	s_addc_u32 s21, s3, 0
.LBB0_2:                                ; =>This Inner Loop Header: Depth=1
	s_load_b64 s[24:25], s[20:21], 0x0
                                        ; implicit-def: $vgpr52_vgpr53
	s_mov_b32 s2, exec_lo
	s_waitcnt lgkmcnt(0)
	v_or_b32_e32 v4, s25, v6
	s_delay_alu instid0(VALU_DEP_1)
	v_cmpx_ne_u64_e32 0, v[3:4]
	s_xor_b32 s3, exec_lo, s2
	s_cbranch_execz .LBB0_4
; %bb.3:                                ;   in Loop: Header=BB0_2 Depth=1
	v_cvt_f32_u32_e32 v4, s24
	v_cvt_f32_u32_e32 v8, s25
	s_sub_u32 s2, 0, s24
	s_subb_u32 s26, 0, s25
	s_delay_alu instid0(VALU_DEP_1) | instskip(NEXT) | instid1(VALU_DEP_1)
	v_fmac_f32_e32 v4, 0x4f800000, v8
	v_rcp_f32_e32 v4, v4
	s_waitcnt_depctr 0xfff
	v_mul_f32_e32 v4, 0x5f7ffffc, v4
	s_delay_alu instid0(VALU_DEP_1) | instskip(NEXT) | instid1(VALU_DEP_1)
	v_mul_f32_e32 v8, 0x2f800000, v4
	v_trunc_f32_e32 v8, v8
	s_delay_alu instid0(VALU_DEP_1) | instskip(SKIP_1) | instid1(VALU_DEP_2)
	v_fmac_f32_e32 v4, 0xcf800000, v8
	v_cvt_u32_f32_e32 v8, v8
	v_cvt_u32_f32_e32 v4, v4
	s_delay_alu instid0(VALU_DEP_2) | instskip(NEXT) | instid1(VALU_DEP_2)
	v_mul_lo_u32 v9, s2, v8
	v_mul_hi_u32 v10, s2, v4
	v_mul_lo_u32 v11, s26, v4
	s_delay_alu instid0(VALU_DEP_2) | instskip(SKIP_1) | instid1(VALU_DEP_2)
	v_add_nc_u32_e32 v9, v10, v9
	v_mul_lo_u32 v10, s2, v4
	v_add_nc_u32_e32 v9, v9, v11
	s_delay_alu instid0(VALU_DEP_2) | instskip(NEXT) | instid1(VALU_DEP_2)
	v_mul_hi_u32 v11, v4, v10
	v_mul_lo_u32 v12, v4, v9
	v_mul_hi_u32 v13, v4, v9
	v_mul_hi_u32 v14, v8, v10
	v_mul_lo_u32 v10, v8, v10
	v_mul_hi_u32 v15, v8, v9
	v_mul_lo_u32 v9, v8, v9
	v_add_co_u32 v11, vcc_lo, v11, v12
	v_add_co_ci_u32_e32 v12, vcc_lo, 0, v13, vcc_lo
	s_delay_alu instid0(VALU_DEP_2) | instskip(NEXT) | instid1(VALU_DEP_2)
	v_add_co_u32 v10, vcc_lo, v11, v10
	v_add_co_ci_u32_e32 v10, vcc_lo, v12, v14, vcc_lo
	v_add_co_ci_u32_e32 v11, vcc_lo, 0, v15, vcc_lo
	s_delay_alu instid0(VALU_DEP_2) | instskip(NEXT) | instid1(VALU_DEP_2)
	v_add_co_u32 v9, vcc_lo, v10, v9
	v_add_co_ci_u32_e32 v10, vcc_lo, 0, v11, vcc_lo
	s_delay_alu instid0(VALU_DEP_2) | instskip(NEXT) | instid1(VALU_DEP_2)
	v_add_co_u32 v4, vcc_lo, v4, v9
	v_add_co_ci_u32_e32 v8, vcc_lo, v8, v10, vcc_lo
	s_delay_alu instid0(VALU_DEP_2) | instskip(SKIP_1) | instid1(VALU_DEP_3)
	v_mul_hi_u32 v9, s2, v4
	v_mul_lo_u32 v11, s26, v4
	v_mul_lo_u32 v10, s2, v8
	s_delay_alu instid0(VALU_DEP_1) | instskip(SKIP_1) | instid1(VALU_DEP_2)
	v_add_nc_u32_e32 v9, v9, v10
	v_mul_lo_u32 v10, s2, v4
	v_add_nc_u32_e32 v9, v9, v11
	s_delay_alu instid0(VALU_DEP_2) | instskip(NEXT) | instid1(VALU_DEP_2)
	v_mul_hi_u32 v11, v4, v10
	v_mul_lo_u32 v12, v4, v9
	v_mul_hi_u32 v13, v4, v9
	v_mul_hi_u32 v14, v8, v10
	v_mul_lo_u32 v10, v8, v10
	v_mul_hi_u32 v15, v8, v9
	v_mul_lo_u32 v9, v8, v9
	v_add_co_u32 v11, vcc_lo, v11, v12
	v_add_co_ci_u32_e32 v12, vcc_lo, 0, v13, vcc_lo
	s_delay_alu instid0(VALU_DEP_2) | instskip(NEXT) | instid1(VALU_DEP_2)
	v_add_co_u32 v10, vcc_lo, v11, v10
	v_add_co_ci_u32_e32 v10, vcc_lo, v12, v14, vcc_lo
	v_add_co_ci_u32_e32 v11, vcc_lo, 0, v15, vcc_lo
	s_delay_alu instid0(VALU_DEP_2) | instskip(NEXT) | instid1(VALU_DEP_2)
	v_add_co_u32 v9, vcc_lo, v10, v9
	v_add_co_ci_u32_e32 v10, vcc_lo, 0, v11, vcc_lo
	s_delay_alu instid0(VALU_DEP_2) | instskip(NEXT) | instid1(VALU_DEP_2)
	v_add_co_u32 v4, vcc_lo, v4, v9
	v_add_co_ci_u32_e32 v14, vcc_lo, v8, v10, vcc_lo
	s_delay_alu instid0(VALU_DEP_2) | instskip(SKIP_1) | instid1(VALU_DEP_3)
	v_mul_hi_u32 v15, v5, v4
	v_mad_u64_u32 v[10:11], null, v6, v4, 0
	v_mad_u64_u32 v[8:9], null, v5, v14, 0
	;; [unrolled: 1-line block ×3, first 2 shown]
	s_delay_alu instid0(VALU_DEP_2) | instskip(NEXT) | instid1(VALU_DEP_3)
	v_add_co_u32 v4, vcc_lo, v15, v8
	v_add_co_ci_u32_e32 v8, vcc_lo, 0, v9, vcc_lo
	s_delay_alu instid0(VALU_DEP_2) | instskip(NEXT) | instid1(VALU_DEP_2)
	v_add_co_u32 v4, vcc_lo, v4, v10
	v_add_co_ci_u32_e32 v4, vcc_lo, v8, v11, vcc_lo
	v_add_co_ci_u32_e32 v8, vcc_lo, 0, v13, vcc_lo
	s_delay_alu instid0(VALU_DEP_2) | instskip(NEXT) | instid1(VALU_DEP_2)
	v_add_co_u32 v4, vcc_lo, v4, v12
	v_add_co_ci_u32_e32 v10, vcc_lo, 0, v8, vcc_lo
	s_delay_alu instid0(VALU_DEP_2) | instskip(SKIP_1) | instid1(VALU_DEP_3)
	v_mul_lo_u32 v11, s25, v4
	v_mad_u64_u32 v[8:9], null, s24, v4, 0
	v_mul_lo_u32 v12, s24, v10
	s_delay_alu instid0(VALU_DEP_2) | instskip(NEXT) | instid1(VALU_DEP_2)
	v_sub_co_u32 v8, vcc_lo, v5, v8
	v_add3_u32 v9, v9, v12, v11
	s_delay_alu instid0(VALU_DEP_1) | instskip(NEXT) | instid1(VALU_DEP_1)
	v_sub_nc_u32_e32 v11, v6, v9
	v_subrev_co_ci_u32_e64 v11, s2, s25, v11, vcc_lo
	v_add_co_u32 v12, s2, v4, 2
	s_delay_alu instid0(VALU_DEP_1) | instskip(SKIP_3) | instid1(VALU_DEP_3)
	v_add_co_ci_u32_e64 v13, s2, 0, v10, s2
	v_sub_co_u32 v14, s2, v8, s24
	v_sub_co_ci_u32_e32 v9, vcc_lo, v6, v9, vcc_lo
	v_subrev_co_ci_u32_e64 v11, s2, 0, v11, s2
	v_cmp_le_u32_e32 vcc_lo, s24, v14
	s_delay_alu instid0(VALU_DEP_3) | instskip(SKIP_1) | instid1(VALU_DEP_4)
	v_cmp_eq_u32_e64 s2, s25, v9
	v_cndmask_b32_e64 v14, 0, -1, vcc_lo
	v_cmp_le_u32_e32 vcc_lo, s25, v11
	v_cndmask_b32_e64 v15, 0, -1, vcc_lo
	v_cmp_le_u32_e32 vcc_lo, s24, v8
	;; [unrolled: 2-line block ×3, first 2 shown]
	v_cndmask_b32_e64 v16, 0, -1, vcc_lo
	v_cmp_eq_u32_e32 vcc_lo, s25, v11
	s_delay_alu instid0(VALU_DEP_2) | instskip(SKIP_3) | instid1(VALU_DEP_3)
	v_cndmask_b32_e64 v8, v16, v8, s2
	v_cndmask_b32_e32 v11, v15, v14, vcc_lo
	v_add_co_u32 v14, vcc_lo, v4, 1
	v_add_co_ci_u32_e32 v15, vcc_lo, 0, v10, vcc_lo
	v_cmp_ne_u32_e32 vcc_lo, 0, v11
	s_delay_alu instid0(VALU_DEP_3) | instskip(NEXT) | instid1(VALU_DEP_3)
	v_cndmask_b32_e32 v11, v14, v12, vcc_lo
	v_cndmask_b32_e32 v9, v15, v13, vcc_lo
	v_cmp_ne_u32_e32 vcc_lo, 0, v8
	s_delay_alu instid0(VALU_DEP_2)
	v_dual_cndmask_b32 v52, v4, v11 :: v_dual_cndmask_b32 v53, v10, v9
.LBB0_4:                                ;   in Loop: Header=BB0_2 Depth=1
	s_and_not1_saveexec_b32 s2, s3
	s_cbranch_execz .LBB0_6
; %bb.5:                                ;   in Loop: Header=BB0_2 Depth=1
	v_cvt_f32_u32_e32 v4, s24
	s_sub_i32 s3, 0, s24
	v_mov_b32_e32 v53, v3
	s_delay_alu instid0(VALU_DEP_2) | instskip(SKIP_2) | instid1(VALU_DEP_1)
	v_rcp_iflag_f32_e32 v4, v4
	s_waitcnt_depctr 0xfff
	v_mul_f32_e32 v4, 0x4f7ffffe, v4
	v_cvt_u32_f32_e32 v4, v4
	s_delay_alu instid0(VALU_DEP_1) | instskip(NEXT) | instid1(VALU_DEP_1)
	v_mul_lo_u32 v8, s3, v4
	v_mul_hi_u32 v8, v4, v8
	s_delay_alu instid0(VALU_DEP_1) | instskip(NEXT) | instid1(VALU_DEP_1)
	v_add_nc_u32_e32 v4, v4, v8
	v_mul_hi_u32 v4, v5, v4
	s_delay_alu instid0(VALU_DEP_1) | instskip(NEXT) | instid1(VALU_DEP_1)
	v_mul_lo_u32 v8, v4, s24
	v_sub_nc_u32_e32 v8, v5, v8
	s_delay_alu instid0(VALU_DEP_1) | instskip(SKIP_1) | instid1(VALU_DEP_2)
	v_subrev_nc_u32_e32 v10, s24, v8
	v_cmp_le_u32_e32 vcc_lo, s24, v8
	v_dual_cndmask_b32 v8, v8, v10 :: v_dual_add_nc_u32 v9, 1, v4
	s_delay_alu instid0(VALU_DEP_1) | instskip(NEXT) | instid1(VALU_DEP_2)
	v_cndmask_b32_e32 v4, v4, v9, vcc_lo
	v_cmp_le_u32_e32 vcc_lo, s24, v8
	s_delay_alu instid0(VALU_DEP_2) | instskip(NEXT) | instid1(VALU_DEP_1)
	v_add_nc_u32_e32 v9, 1, v4
	v_cndmask_b32_e32 v52, v4, v9, vcc_lo
.LBB0_6:                                ;   in Loop: Header=BB0_2 Depth=1
	s_or_b32 exec_lo, exec_lo, s2
	s_delay_alu instid0(VALU_DEP_1) | instskip(NEXT) | instid1(VALU_DEP_2)
	v_mul_lo_u32 v4, v53, s24
	v_mul_lo_u32 v10, v52, s25
	s_load_b64 s[2:3], s[14:15], 0x0
	v_mad_u64_u32 v[8:9], null, v52, s24, 0
	s_load_b64 s[24:25], s[12:13], 0x0
	s_add_u32 s22, s22, 1
	s_addc_u32 s23, s23, 0
	s_add_u32 s12, s12, 8
	s_addc_u32 s13, s13, 0
	s_add_u32 s14, s14, 8
	s_delay_alu instid0(VALU_DEP_1) | instskip(SKIP_3) | instid1(VALU_DEP_2)
	v_add3_u32 v4, v9, v10, v4
	v_sub_co_u32 v10, vcc_lo, v5, v8
	s_addc_u32 s15, s15, 0
	s_add_u32 s20, s20, 8
	v_sub_co_ci_u32_e32 v6, vcc_lo, v6, v4, vcc_lo
	s_addc_u32 s21, s21, 0
	s_waitcnt lgkmcnt(0)
	s_delay_alu instid0(VALU_DEP_1)
	v_mul_lo_u32 v11, s2, v6
	v_mul_lo_u32 v12, s3, v10
	v_mad_u64_u32 v[4:5], null, s2, v10, v[1:2]
	v_mul_lo_u32 v6, s24, v6
	v_mul_lo_u32 v13, s25, v10
	v_mad_u64_u32 v[8:9], null, s24, v10, v[48:49]
	v_cmp_ge_u64_e64 s2, s[22:23], s[10:11]
	v_add3_u32 v2, v12, v5, v11
	v_mov_b32_e32 v1, v4
	s_delay_alu instid0(VALU_DEP_4)
	v_add3_u32 v49, v13, v9, v6
	v_mov_b32_e32 v48, v8
	s_and_b32 vcc_lo, exec_lo, s2
	s_cbranch_vccnz .LBB0_9
; %bb.7:                                ;   in Loop: Header=BB0_2 Depth=1
	v_dual_mov_b32 v5, v52 :: v_dual_mov_b32 v6, v53
	s_branch .LBB0_2
.LBB0_8:
	v_dual_mov_b32 v49, v2 :: v_dual_mov_b32 v48, v1
	v_dual_mov_b32 v53, v6 :: v_dual_mov_b32 v52, v5
.LBB0_9:
	s_load_b64 s[0:1], s[0:1], 0x28
	v_mul_hi_u32 v3, 0x8888889, v0
	s_lshl_b64 s[10:11], s[10:11], 3
	v_and_b32_e32 v4, 3, v7
	s_add_u32 s2, s18, s10
	s_addc_u32 s3, s19, s11
                                        ; implicit-def: $vgpr50
                                        ; implicit-def: $vgpr54
	s_waitcnt lgkmcnt(0)
	v_cmp_gt_u64_e32 vcc_lo, s[0:1], v[52:53]
	v_cmp_le_u64_e64 s0, s[0:1], v[52:53]
	s_delay_alu instid0(VALU_DEP_1) | instskip(NEXT) | instid1(SALU_CYCLE_1)
	s_and_saveexec_b32 s1, s0
	s_xor_b32 s0, exec_lo, s1
; %bb.10:
	v_mul_u32_u24_e32 v1, 30, v3
                                        ; implicit-def: $vgpr3
	s_delay_alu instid0(VALU_DEP_1) | instskip(NEXT) | instid1(VALU_DEP_1)
	v_sub_nc_u32_e32 v50, v0, v1
                                        ; implicit-def: $vgpr0
                                        ; implicit-def: $vgpr1_vgpr2
	v_add_nc_u32_e32 v54, 30, v50
; %bb.11:
	s_or_saveexec_b32 s1, s0
	v_mul_u32_u24_e32 v4, 0x1c3, v4
	s_delay_alu instid0(VALU_DEP_1)
	v_lshlrev_b32_e32 v70, 4, v4
	s_xor_b32 exec_lo, exec_lo, s1
	s_cbranch_execz .LBB0_13
; %bb.12:
	s_add_u32 s10, s16, s10
	s_addc_u32 s11, s17, s11
	v_lshlrev_b64 v[1:2], 4, v[1:2]
	s_load_b64 s[10:11], s[10:11], 0x0
	s_waitcnt lgkmcnt(0)
	v_mul_lo_u32 v6, s11, v52
	v_mul_lo_u32 v7, s10, v53
	v_mad_u64_u32 v[4:5], null, s10, v52, 0
	s_delay_alu instid0(VALU_DEP_1) | instskip(SKIP_1) | instid1(VALU_DEP_2)
	v_add3_u32 v5, v5, v7, v6
	v_mul_u32_u24_e32 v6, 30, v3
	v_lshlrev_b64 v[3:4], 4, v[4:5]
	s_delay_alu instid0(VALU_DEP_2) | instskip(NEXT) | instid1(VALU_DEP_1)
	v_sub_nc_u32_e32 v50, v0, v6
	v_lshlrev_b32_e32 v51, 4, v50
	s_delay_alu instid0(VALU_DEP_3) | instskip(NEXT) | instid1(VALU_DEP_1)
	v_add_co_u32 v0, s0, s4, v3
	v_add_co_ci_u32_e64 v3, s0, s5, v4, s0
	v_add_nc_u32_e32 v54, 30, v50
	s_delay_alu instid0(VALU_DEP_3) | instskip(NEXT) | instid1(VALU_DEP_1)
	v_add_co_u32 v0, s0, v0, v1
	v_add_co_ci_u32_e64 v1, s0, v3, v2, s0
	s_delay_alu instid0(VALU_DEP_2) | instskip(NEXT) | instid1(VALU_DEP_1)
	v_add_co_u32 v32, s0, v0, v51
	v_add_co_ci_u32_e64 v33, s0, 0, v1, s0
	s_clause 0x3
	global_load_b128 v[0:3], v[32:33], off
	global_load_b128 v[4:7], v[32:33], off offset:480
	global_load_b128 v[8:11], v[32:33], off offset:960
	;; [unrolled: 1-line block ×3, first 2 shown]
	v_add_co_u32 v63, s0, 0x1000, v32
	s_delay_alu instid0(VALU_DEP_1)
	v_add_co_ci_u32_e64 v64, s0, 0, v33, s0
	s_clause 0xa
	global_load_b128 v[16:19], v[32:33], off offset:1920
	global_load_b128 v[20:23], v[32:33], off offset:2400
	;; [unrolled: 1-line block ×11, first 2 shown]
	v_add3_u32 v51, 0, v70, v51
	s_waitcnt vmcnt(14)
	ds_store_b128 v51, v[0:3]
	s_waitcnt vmcnt(13)
	ds_store_b128 v51, v[4:7] offset:480
	s_waitcnt vmcnt(12)
	ds_store_b128 v51, v[8:11] offset:960
	s_waitcnt vmcnt(11)
	ds_store_b128 v51, v[12:15] offset:1440
	s_waitcnt vmcnt(10)
	ds_store_b128 v51, v[16:19] offset:1920
	s_waitcnt vmcnt(9)
	ds_store_b128 v51, v[20:23] offset:2400
	s_waitcnt vmcnt(8)
	ds_store_b128 v51, v[24:27] offset:2880
	s_waitcnt vmcnt(7)
	ds_store_b128 v51, v[28:31] offset:3360
	s_waitcnt vmcnt(6)
	ds_store_b128 v51, v[32:35] offset:3840
	s_waitcnt vmcnt(5)
	ds_store_b128 v51, v[36:39] offset:4320
	s_waitcnt vmcnt(4)
	ds_store_b128 v51, v[40:43] offset:4800
	s_waitcnt vmcnt(3)
	ds_store_b128 v51, v[44:47] offset:5280
	s_waitcnt vmcnt(2)
	ds_store_b128 v51, v[55:58] offset:5760
	s_waitcnt vmcnt(1)
	ds_store_b128 v51, v[59:62] offset:6240
	s_waitcnt vmcnt(0)
	ds_store_b128 v51, v[63:66] offset:6720
.LBB0_13:
	s_or_b32 exec_lo, exec_lo, s1
	v_lshlrev_b32_e32 v51, 4, v50
	s_load_b64 s[2:3], s[2:3], 0x0
	s_waitcnt lgkmcnt(0)
	s_barrier
	buffer_gl0_inv
	v_add_nc_u32_e32 v0, 0, v51
	s_mov_b32 s14, 0x134454ff
	s_mov_b32 s15, 0x3fee6f0e
	;; [unrolled: 1-line block ×4, first 2 shown]
	v_add_nc_u32_e32 v69, v0, v70
	v_add_nc_u32_e32 v67, 0, v70
	s_mov_b32 s10, 0x4755a5e
	s_mov_b32 s11, 0x3fe2cf23
	;; [unrolled: 1-line block ×3, first 2 shown]
	ds_load_b128 v[20:23], v69 offset:5040
	ds_load_b128 v[36:39], v69 offset:3600
	ds_load_b128 v[55:58], v69 offset:6480
	ds_load_b128 v[59:62], v69 offset:2160
	ds_load_b128 v[12:15], v69 offset:4080
	ds_load_b128 v[4:7], v69 offset:5520
	ds_load_b128 v[28:31], v69 offset:2640
	ds_load_b128 v[0:3], v69 offset:6960
	ds_load_b128 v[63:66], v69 offset:720
	ds_load_b128 v[40:43], v69 offset:1200
	ds_load_b128 v[71:74], v69 offset:2880
	ds_load_b128 v[75:78], v69 offset:4320
	ds_load_b128 v[79:82], v69 offset:5760
	ds_load_b128 v[83:86], v69 offset:1440
	v_add_nc_u32_e32 v68, v67, v51
	s_mov_b32 s12, s10
	s_mov_b32 s4, 0x372fe950
	;; [unrolled: 1-line block ×5, first 2 shown]
	v_cmp_gt_u32_e64 s0, 15, v50
	s_waitcnt lgkmcnt(12)
	v_add_f64 v[8:9], v[36:37], v[20:21]
	v_add_f64 v[18:19], v[38:39], v[22:23]
	s_waitcnt lgkmcnt(10)
	v_add_f64 v[10:11], v[61:62], v[57:58]
	v_add_f64 v[16:17], v[59:60], v[55:56]
	v_add_f64 v[91:92], v[61:62], -v[57:58]
	v_add_f64 v[93:94], v[38:39], -v[22:23]
	v_add_f64 v[95:96], v[36:37], -v[20:21]
	v_add_f64 v[99:100], v[59:60], -v[55:56]
	v_add_f64 v[103:104], v[59:60], -v[36:37]
	v_add_f64 v[105:106], v[55:56], -v[20:21]
	s_waitcnt lgkmcnt(2)
	v_add_f64 v[107:108], v[71:72], v[75:76]
	s_waitcnt lgkmcnt(0)
	v_add_f64 v[109:110], v[83:84], v[79:80]
	v_add_f64 v[111:112], v[73:74], v[77:78]
	;; [unrolled: 1-line block ×3, first 2 shown]
	v_add_f64 v[115:116], v[36:37], -v[59:60]
	v_add_f64 v[117:118], v[38:39], -v[61:62]
	;; [unrolled: 1-line block ×6, first 2 shown]
	v_add_f64 v[59:60], v[63:64], v[59:60]
	v_add_f64 v[61:62], v[65:66], v[61:62]
	v_add_f64 v[141:142], v[73:74], -v[77:78]
	v_fma_f64 v[44:45], v[8:9], -0.5, v[63:64]
	v_fma_f64 v[101:102], v[18:19], -0.5, v[65:66]
	;; [unrolled: 1-line block ×4, first 2 shown]
	ds_load_b128 v[32:35], v69 offset:1920
	ds_load_b128 v[24:27], v69 offset:3360
	ds_load_b128 v[16:19], v69 offset:4800
	ds_load_b128 v[8:11], v69 offset:6240
	ds_load_b128 v[87:90], v68
	v_add_f64 v[65:66], v[85:86], -v[81:82]
	v_add_f64 v[103:104], v[103:104], v[105:106]
	v_add_f64 v[105:106], v[83:84], -v[79:80]
	v_add_f64 v[115:116], v[115:116], v[121:122]
	v_add_f64 v[117:118], v[117:118], v[123:124]
	;; [unrolled: 1-line block ×5, first 2 shown]
	v_add_f64 v[129:130], v[85:86], -v[73:74]
	v_add_f64 v[131:132], v[75:76], -v[79:80]
	v_fma_f64 v[119:120], v[91:92], s[14:15], v[44:45]
	v_fma_f64 v[135:136], v[91:92], s[16:17], v[44:45]
	;; [unrolled: 1-line block ×6, first 2 shown]
	ds_load_b128 v[44:47], v69 offset:480
	v_fma_f64 v[137:138], v[99:100], s[14:15], v[101:102]
	s_waitcnt lgkmcnt(1)
	v_add_f64 v[139:140], v[87:88], v[83:84]
	v_add_f64 v[63:64], v[89:90], v[85:86]
	v_fma_f64 v[107:108], v[107:108], -0.5, v[87:88]
	v_fma_f64 v[87:88], v[109:110], -0.5, v[87:88]
	;; [unrolled: 1-line block ×3, first 2 shown]
	v_fma_f64 v[101:102], v[99:100], s[16:17], v[101:102]
	v_fma_f64 v[89:90], v[113:114], -0.5, v[89:90]
	v_add_f64 v[113:114], v[71:72], -v[75:76]
	v_add_f64 v[85:86], v[73:74], -v[85:86]
	s_waitcnt lgkmcnt(0)
	s_barrier
	buffer_gl0_inv
	v_add_f64 v[20:21], v[36:37], v[20:21]
	v_add_f64 v[22:23], v[38:39], v[22:23]
	v_fma_f64 v[111:112], v[93:94], s[10:11], v[119:120]
	v_fma_f64 v[93:94], v[93:94], s[12:13], v[135:136]
	;; [unrolled: 1-line block ×6, first 2 shown]
	v_add_f64 v[125:126], v[83:84], -v[71:72]
	v_fma_f64 v[99:100], v[95:96], s[10:11], v[137:138]
	v_add_f64 v[83:84], v[71:72], -v[83:84]
	v_add_f64 v[71:72], v[139:140], v[71:72]
	v_add_f64 v[63:64], v[63:64], v[73:74]
	v_add_f64 v[127:128], v[79:80], -v[75:76]
	v_add_f64 v[133:134], v[81:82], -v[77:78]
	v_fma_f64 v[59:60], v[65:66], s[14:15], v[107:108]
	v_fma_f64 v[61:62], v[65:66], s[16:17], v[107:108]
	;; [unrolled: 1-line block ×5, first 2 shown]
	v_add_f64 v[135:136], v[77:78], -v[81:82]
	v_fma_f64 v[87:88], v[141:142], s[14:15], v[87:88]
	v_fma_f64 v[109:110], v[105:106], s[14:15], v[109:110]
	v_add_f64 v[55:56], v[20:21], v[55:56]
	v_add_f64 v[57:58], v[22:23], v[57:58]
	v_fma_f64 v[101:102], v[103:104], s[4:5], v[111:112]
	v_fma_f64 v[111:112], v[113:114], s[14:15], v[89:90]
	;; [unrolled: 1-line block ×9, first 2 shown]
	v_add_f64 v[71:72], v[71:72], v[75:76]
	v_add_f64 v[63:64], v[63:64], v[77:78]
	;; [unrolled: 1-line block ×5, first 2 shown]
	v_fma_f64 v[36:37], v[141:142], s[10:11], v[59:60]
	v_fma_f64 v[38:39], v[141:142], s[12:13], v[61:62]
	;; [unrolled: 1-line block ×5, first 2 shown]
	v_add_f64 v[85:86], v[85:86], v[135:136]
	v_fma_f64 v[65:66], v[65:66], s[12:13], v[87:88]
	v_fma_f64 v[107:108], v[113:114], s[10:11], v[109:110]
	v_mul_f64 v[75:76], v[101:102], s[18:19]
	v_mul_f64 v[77:78], v[101:102], s[12:13]
	v_fma_f64 v[87:88], v[105:106], s[12:13], v[111:112]
	v_mul_f64 v[95:96], v[119:120], s[14:15]
	v_mul_f64 v[101:102], v[121:122], s[16:17]
	;; [unrolled: 3-line block ×3, first 2 shown]
	v_mul_f64 v[111:112], v[93:94], s[18:19]
	v_mul_f64 v[113:114], v[99:100], s[18:19]
	v_add_f64 v[71:72], v[71:72], v[79:80]
	v_add_f64 v[63:64], v[63:64], v[81:82]
	v_fma_f64 v[79:80], v[103:104], s[4:5], v[36:37]
	v_fma_f64 v[103:104], v[103:104], s[4:5], v[38:39]
	;; [unrolled: 1-line block ×11, first 2 shown]
	v_fma_f64 v[89:90], v[97:98], s[14:15], -v[105:106]
	v_fma_f64 v[91:92], v[91:92], s[16:17], -v[109:110]
	v_fma_f64 v[95:96], v[115:116], s[4:5], v[107:108]
	v_fma_f64 v[97:98], v[99:100], s[10:11], -v[111:112]
	v_fma_f64 v[93:94], v[93:94], s[12:13], -v[113:114]
	v_add_f64 v[20:21], v[71:72], v[55:56]
	v_add_f64 v[22:23], v[63:64], v[57:58]
	v_add_f64 v[36:37], v[71:72], -v[55:56]
	v_add_f64 v[38:39], v[63:64], -v[57:58]
	v_add_f64 v[55:56], v[79:80], v[59:60]
	v_add_f64 v[57:58], v[61:62], v[73:74]
	v_add_f64 v[61:62], v[61:62], -v[73:74]
	v_add_f64 v[63:64], v[81:82], v[77:78]
	v_add_f64 v[65:66], v[75:76], v[87:88]
	v_add_f64 v[71:72], v[81:82], -v[77:78]
	v_add_f64 v[73:74], v[75:76], -v[87:88]
	v_add_f64 v[75:76], v[83:84], v[89:90]
	v_add_f64 v[77:78], v[85:86], v[91:92]
	v_add_f64 v[59:60], v[79:80], -v[59:60]
	v_add_f64 v[79:80], v[103:104], v[97:98]
	v_add_f64 v[81:82], v[95:96], v[93:94]
	v_add_f64 v[83:84], v[83:84], -v[89:90]
	v_add_f64 v[85:86], v[85:86], -v[91:92]
	;; [unrolled: 1-line block ×4, first 2 shown]
	v_mul_u32_u24_e32 v91, 10, v50
	s_delay_alu instid0(VALU_DEP_1)
	v_lshl_add_u32 v91, v91, 4, v67
	ds_store_b128 v91, v[20:23]
	ds_store_b128 v91, v[55:58] offset:16
	ds_store_b128 v91, v[63:66] offset:32
	;; [unrolled: 1-line block ×9, first 2 shown]
	s_and_saveexec_b32 s1, s0
	s_cbranch_execz .LBB0_15
; %bb.14:
	v_add_f64 v[20:21], v[14:15], v[6:7]
	v_add_f64 v[22:23], v[30:31], v[2:3]
	;; [unrolled: 1-line block ×4, first 2 shown]
	v_add_f64 v[55:56], v[14:15], -v[6:7]
	v_add_f64 v[57:58], v[12:13], -v[4:5]
	;; [unrolled: 1-line block ×4, first 2 shown]
	v_add_f64 v[63:64], v[26:27], v[18:19]
	v_add_f64 v[65:66], v[30:31], -v[14:15]
	v_add_f64 v[71:72], v[2:3], -v[6:7]
	v_add_f64 v[73:74], v[34:35], v[10:11]
	v_add_f64 v[75:76], v[12:13], -v[28:29]
	v_add_f64 v[77:78], v[4:5], -v[0:1]
	;; [unrolled: 1-line block ×4, first 2 shown]
	v_add_f64 v[83:84], v[24:25], v[16:17]
	v_add_f64 v[85:86], v[32:33], v[8:9]
	v_add_f64 v[93:94], v[28:29], -v[12:13]
	v_add_f64 v[95:96], v[0:1], -v[4:5]
	v_add_f64 v[103:104], v[46:47], v[34:35]
	v_add_f64 v[30:31], v[42:43], v[30:31]
	;; [unrolled: 1-line block ×4, first 2 shown]
	v_add_f64 v[99:100], v[24:25], -v[16:17]
	v_add_f64 v[101:102], v[32:33], -v[8:9]
	;; [unrolled: 1-line block ×3, first 2 shown]
	v_fma_f64 v[20:21], v[20:21], -0.5, v[42:43]
	v_fma_f64 v[22:23], v[22:23], -0.5, v[42:43]
	;; [unrolled: 1-line block ×4, first 2 shown]
	v_add_f64 v[42:43], v[34:35], -v[10:11]
	v_fma_f64 v[40:41], v[63:64], -0.5, v[46:47]
	v_add_f64 v[63:64], v[65:66], v[71:72]
	v_fma_f64 v[46:47], v[73:74], -0.5, v[46:47]
	v_add_f64 v[65:66], v[75:76], v[77:78]
	v_add_f64 v[71:72], v[79:80], v[81:82]
	v_fma_f64 v[73:74], v[83:84], -0.5, v[44:45]
	v_fma_f64 v[44:45], v[85:86], -0.5, v[44:45]
	v_add_f64 v[85:86], v[32:33], -v[24:25]
	v_add_f64 v[81:82], v[93:94], v[95:96]
	v_add_f64 v[32:33], v[24:25], -v[32:33]
	v_add_f64 v[14:15], v[30:31], v[14:15]
	v_add_f64 v[24:25], v[107:108], v[24:25]
	;; [unrolled: 1-line block ×3, first 2 shown]
	v_fma_f64 v[87:88], v[59:60], s[14:15], v[20:21]
	v_fma_f64 v[89:90], v[57:58], s[16:17], v[22:23]
	;; [unrolled: 1-line block ×14, first 2 shown]
	v_add_f64 v[6:7], v[14:15], v[6:7]
	v_add_f64 v[14:15], v[24:25], v[16:17]
	;; [unrolled: 1-line block ×3, first 2 shown]
	v_fma_f64 v[75:76], v[57:58], s[10:11], v[87:88]
	v_fma_f64 v[77:78], v[59:60], s[10:11], v[89:90]
	;; [unrolled: 1-line block ×7, first 2 shown]
	v_add_f64 v[55:56], v[34:35], -v[26:27]
	v_add_f64 v[34:35], v[26:27], -v[34:35]
	v_add_f64 v[26:27], v[103:104], v[26:27]
	v_add_f64 v[59:60], v[10:11], -v[18:19]
	v_add_f64 v[61:62], v[18:19], -v[10:11]
	;; [unrolled: 1-line block ×3, first 2 shown]
	v_fma_f64 v[91:92], v[42:43], s[16:17], v[73:74]
	v_fma_f64 v[73:74], v[42:43], s[14:15], v[73:74]
	;; [unrolled: 1-line block ×3, first 2 shown]
	v_add_f64 v[89:90], v[16:17], -v[8:9]
	v_fma_f64 v[12:13], v[99:100], s[10:11], v[28:29]
	v_fma_f64 v[16:17], v[101:102], s[10:11], v[30:31]
	;; [unrolled: 1-line block ×5, first 2 shown]
	v_add_f64 v[6:7], v[6:7], v[2:3]
	v_add_f64 v[8:9], v[14:15], v[8:9]
	;; [unrolled: 1-line block ×3, first 2 shown]
	v_fma_f64 v[75:76], v[63:64], s[4:5], v[75:76]
	v_fma_f64 v[77:78], v[71:72], s[4:5], v[77:78]
	;; [unrolled: 1-line block ×7, first 2 shown]
	v_add_f64 v[18:19], v[26:27], v[18:19]
	v_add_f64 v[55:56], v[55:56], v[59:60]
	;; [unrolled: 1-line block ×4, first 2 shown]
	v_fma_f64 v[26:27], v[99:100], s[12:13], v[40:41]
	v_fma_f64 v[28:29], v[105:106], s[12:13], v[91:92]
	v_fma_f64 v[44:45], v[105:106], s[10:11], v[73:74]
	v_fma_f64 v[20:21], v[63:64], s[4:5], v[20:21]
	v_add_f64 v[32:33], v[32:33], v[89:90]
	v_add_f64 v[0:1], v[8:9], -v[4:5]
	v_add_f64 v[4:5], v[8:9], v[4:5]
	v_mul_f64 v[40:41], v[75:76], s[18:19]
	v_mul_f64 v[46:47], v[77:78], s[4:5]
	;; [unrolled: 1-line block ×8, first 2 shown]
	v_add_f64 v[10:11], v[18:19], v[10:11]
	v_fma_f64 v[12:13], v[55:56], s[4:5], v[12:13]
	v_fma_f64 v[16:17], v[34:35], s[4:5], v[16:17]
	;; [unrolled: 1-line block ×6, first 2 shown]
	v_fma_f64 v[26:27], v[38:39], s[12:13], -v[40:41]
	v_fma_f64 v[28:29], v[36:37], s[16:17], -v[46:47]
	v_fma_f64 v[34:35], v[22:23], s[4:5], v[61:62]
	v_fma_f64 v[36:37], v[59:60], s[4:5], v[44:45]
	;; [unrolled: 1-line block ×6, first 2 shown]
	v_fma_f64 v[57:58], v[77:78], s[14:15], -v[71:72]
	v_fma_f64 v[59:60], v[75:76], s[10:11], -v[73:74]
	v_add_f64 v[2:3], v[10:11], -v[6:7]
	v_add_f64 v[6:7], v[10:11], v[6:7]
	v_add_f64 v[10:11], v[12:13], -v[26:27]
	v_add_f64 v[14:15], v[16:17], -v[28:29]
	;; [unrolled: 1-line block ×3, first 2 shown]
	v_add_f64 v[30:31], v[24:25], v[34:35]
	v_add_f64 v[34:35], v[55:56], v[38:39]
	;; [unrolled: 1-line block ×8, first 2 shown]
	v_add_f64 v[38:39], v[55:56], -v[38:39]
	v_add_f64 v[36:37], v[36:37], -v[44:45]
	;; [unrolled: 1-line block ×5, first 2 shown]
	v_mul_i32_i24_e32 v40, 10, v54
	s_delay_alu instid0(VALU_DEP_1) | instskip(NEXT) | instid1(VALU_DEP_1)
	v_lshlrev_b32_e32 v40, 4, v40
	v_add3_u32 v40, 0, v40, v70
	ds_store_b128 v40, v[4:7]
	ds_store_b128 v40, v[32:35] offset:16
	ds_store_b128 v40, v[28:31] offset:32
	;; [unrolled: 1-line block ×9, first 2 shown]
.LBB0_15:
	s_or_b32 exec_lo, exec_lo, s1
	v_and_b32_e32 v0, 0xff, v50
	v_and_b32_e32 v1, 0xff, v54
	v_add_nc_u32_e32 v71, 60, v50
	s_waitcnt lgkmcnt(0)
	s_barrier
	v_mul_lo_u16 v0, 0xcd, v0
	buffer_gl0_inv
	v_cmp_gt_u32_e64 s1, 20, v50
	v_lshrrev_b16 v73, 11, v0
	v_mul_lo_u16 v0, 0xcd, v1
	s_delay_alu instid0(VALU_DEP_2) | instskip(NEXT) | instid1(VALU_DEP_2)
	v_mul_lo_u16 v1, v73, 10
	v_lshrrev_b16 v80, 11, v0
	v_and_b32_e32 v0, 0xff, v71
	s_delay_alu instid0(VALU_DEP_3) | instskip(NEXT) | instid1(VALU_DEP_3)
	v_sub_nc_u16 v1, v50, v1
	v_mul_lo_u16 v2, v80, 10
	s_delay_alu instid0(VALU_DEP_3) | instskip(NEXT) | instid1(VALU_DEP_3)
	v_mul_lo_u16 v0, 0xcd, v0
	v_and_b32_e32 v76, 0xff, v1
	s_delay_alu instid0(VALU_DEP_3) | instskip(NEXT) | instid1(VALU_DEP_3)
	v_sub_nc_u16 v1, v54, v2
	v_lshrrev_b16 v78, 11, v0
	s_delay_alu instid0(VALU_DEP_3) | instskip(NEXT) | instid1(VALU_DEP_3)
	v_lshlrev_b32_e32 v12, 6, v76
	v_and_b32_e32 v77, 0xff, v1
	s_delay_alu instid0(VALU_DEP_3)
	v_mul_lo_u16 v13, v78, 10
	s_clause 0x1
	global_load_b128 v[0:3], v12, s[8:9]
	global_load_b128 v[4:7], v12, s[8:9] offset:16
	v_lshlrev_b32_e32 v24, 6, v77
	v_sub_nc_u16 v25, v71, v13
	s_clause 0x5
	global_load_b128 v[8:11], v12, s[8:9] offset:32
	global_load_b128 v[12:15], v12, s[8:9] offset:48
	global_load_b128 v[16:19], v24, s[8:9]
	global_load_b128 v[20:23], v24, s[8:9] offset:16
	global_load_b128 v[28:31], v24, s[8:9] offset:32
	;; [unrolled: 1-line block ×3, first 2 shown]
	v_and_b32_e32 v79, 0xff, v25
	s_delay_alu instid0(VALU_DEP_1)
	v_lshlrev_b32_e32 v24, 6, v79
	s_clause 0x3
	global_load_b128 v[42:45], v24, s[8:9]
	global_load_b128 v[81:84], v24, s[8:9] offset:16
	global_load_b128 v[85:88], v24, s[8:9] offset:32
	;; [unrolled: 1-line block ×3, first 2 shown]
	ds_load_b128 v[24:27], v69 offset:1440
	ds_load_b128 v[36:39], v69 offset:2880
	ds_load_b128 v[55:58], v69 offset:4320
	ds_load_b128 v[93:96], v69 offset:5760
	ds_load_b128 v[97:100], v69 offset:1920
	ds_load_b128 v[101:104], v69 offset:3360
	ds_load_b128 v[105:108], v69 offset:4800
	ds_load_b128 v[109:112], v69 offset:6240
	ds_load_b128 v[113:116], v69 offset:2400
	ds_load_b128 v[117:120], v69 offset:3840
	ds_load_b128 v[121:124], v69 offset:5280
	ds_load_b128 v[125:128], v69 offset:6720
	s_waitcnt vmcnt(11) lgkmcnt(11)
	v_mul_f64 v[40:41], v[26:27], v[2:3]
	s_waitcnt vmcnt(10) lgkmcnt(10)
	v_mul_f64 v[46:47], v[38:39], v[6:7]
	v_mul_f64 v[6:7], v[36:37], v[6:7]
	;; [unrolled: 1-line block ×3, first 2 shown]
	s_waitcnt vmcnt(9) lgkmcnt(9)
	v_mul_f64 v[59:60], v[57:58], v[10:11]
	v_mul_f64 v[10:11], v[55:56], v[10:11]
	s_waitcnt vmcnt(8) lgkmcnt(8)
	v_mul_f64 v[65:66], v[95:96], v[14:15]
	v_mul_f64 v[14:15], v[93:94], v[14:15]
	s_waitcnt vmcnt(7) lgkmcnt(7)
	v_mul_f64 v[74:75], v[99:100], v[18:19]
	s_waitcnt vmcnt(6) lgkmcnt(6)
	v_mul_f64 v[129:130], v[103:104], v[22:23]
	v_mul_f64 v[131:132], v[101:102], v[22:23]
	s_waitcnt vmcnt(5) lgkmcnt(5)
	v_mul_f64 v[133:134], v[107:108], v[30:31]
	s_waitcnt vmcnt(4) lgkmcnt(4)
	v_mul_f64 v[135:136], v[111:112], v[34:35]
	v_mul_f64 v[30:31], v[105:106], v[30:31]
	;; [unrolled: 1-line block ×4, first 2 shown]
	s_waitcnt vmcnt(3) lgkmcnt(3)
	v_mul_f64 v[139:140], v[115:116], v[44:45]
	v_mul_f64 v[44:45], v[113:114], v[44:45]
	s_waitcnt vmcnt(2) lgkmcnt(2)
	v_mul_f64 v[141:142], v[119:120], v[83:84]
	v_mul_f64 v[83:84], v[117:118], v[83:84]
	s_waitcnt vmcnt(1) lgkmcnt(1)
	v_mul_f64 v[143:144], v[123:124], v[87:88]
	s_waitcnt vmcnt(0) lgkmcnt(0)
	v_mul_f64 v[145:146], v[127:128], v[91:92]
	v_mul_f64 v[87:88], v[121:122], v[87:88]
	;; [unrolled: 1-line block ×3, first 2 shown]
	v_fma_f64 v[61:62], v[24:25], v[0:1], -v[40:41]
	v_fma_f64 v[34:35], v[36:37], v[4:5], -v[46:47]
	v_fma_f64 v[36:37], v[38:39], v[4:5], v[6:7]
	v_fma_f64 v[63:64], v[26:27], v[0:1], v[2:3]
	v_fma_f64 v[22:23], v[55:56], v[8:9], -v[59:60]
	v_fma_f64 v[24:25], v[57:58], v[8:9], v[10:11]
	v_fma_f64 v[10:11], v[93:94], v[12:13], -v[65:66]
	;; [unrolled: 2-line block ×3, first 2 shown]
	v_fma_f64 v[38:39], v[101:102], v[20:21], -v[129:130]
	v_fma_f64 v[40:41], v[103:104], v[20:21], v[131:132]
	v_fma_f64 v[26:27], v[105:106], v[28:29], -v[133:134]
	v_fma_f64 v[14:15], v[109:110], v[32:33], -v[135:136]
	v_fma_f64 v[28:29], v[107:108], v[28:29], v[30:31]
	v_fma_f64 v[59:60], v[99:100], v[16:17], v[18:19]
	;; [unrolled: 1-line block ×3, first 2 shown]
	v_fma_f64 v[55:56], v[113:114], v[42:43], -v[139:140]
	v_fma_f64 v[46:47], v[115:116], v[42:43], v[44:45]
	v_fma_f64 v[44:45], v[117:118], v[81:82], -v[141:142]
	v_fma_f64 v[42:43], v[119:120], v[81:82], v[83:84]
	v_fma_f64 v[30:31], v[121:122], v[85:86], -v[143:144]
	v_fma_f64 v[18:19], v[125:126], v[89:90], -v[145:146]
	v_fma_f64 v[32:33], v[123:124], v[85:86], v[87:88]
	v_fma_f64 v[20:21], v[127:128], v[89:90], v[91:92]
	v_lshlrev_b32_e32 v65, 4, v54
	ds_load_b128 v[4:7], v68
	ds_load_b128 v[0:3], v69 offset:960
	v_dual_mov_b32 v9, 0 :: v_dual_lshlrev_b32 v8, 1, v50
	v_subrev_nc_u32_e32 v81, 20, v50
	v_add3_u32 v72, 0, v65, v70
	v_add_nc_u32_e32 v75, 0x5a, v50
	v_add_nc_u32_e32 v74, 0x78, v50
	v_lshlrev_b64 v[65:66], 4, v[8:9]
	v_cndmask_b32_e64 v81, v81, v54, s1
	ds_load_b128 v[82:85], v72
	v_and_b32_e32 v164, 0xff, v75
	v_and_b32_e32 v165, 0xff, v74
	v_add_nc_u32_e32 v8, 20, v8
	s_waitcnt lgkmcnt(0)
	v_add_f64 v[102:103], v[61:62], -v[34:35]
	v_add_f64 v[106:107], v[34:35], -v[61:62]
	;; [unrolled: 1-line block ×3, first 2 shown]
	v_add_f64 v[86:87], v[34:35], v[22:23]
	v_add_f64 v[90:91], v[36:37], v[24:25]
	;; [unrolled: 1-line block ×4, first 2 shown]
	v_add_f64 v[104:105], v[10:11], -v[22:23]
	v_add_f64 v[108:109], v[22:23], -v[10:11]
	v_add_f64 v[130:131], v[4:5], v[61:62]
	v_add_f64 v[94:95], v[38:39], v[26:27]
	;; [unrolled: 1-line block ×6, first 2 shown]
	v_add_f64 v[114:115], v[36:37], -v[63:64]
	v_add_f64 v[116:117], v[24:25], -v[12:13]
	;; [unrolled: 1-line block ×4, first 2 shown]
	v_add_f64 v[120:121], v[44:45], v[30:31]
	v_add_f64 v[122:123], v[55:56], v[18:19]
	;; [unrolled: 1-line block ×5, first 2 shown]
	v_add_f64 v[136:137], v[38:39], -v[57:58]
	v_add_f64 v[138:139], v[26:27], -v[14:15]
	v_add_f64 v[140:141], v[84:85], v[59:60]
	v_add_f64 v[63:64], v[63:64], -v[12:13]
	v_add_f64 v[61:62], v[61:62], -v[10:11]
	v_add_f64 v[152:153], v[0:1], v[55:56]
	v_add_f64 v[158:159], v[2:3], v[46:47]
	v_add_f64 v[142:143], v[59:60], -v[40:41]
	v_add_f64 v[144:145], v[16:17], -v[28:29]
	v_add_f64 v[150:151], v[36:37], -v[24:25]
	v_add_f64 v[146:147], v[40:41], -v[59:60]
	v_add_f64 v[148:149], v[28:29], -v[16:17]
	v_add_f64 v[59:60], v[59:60], -v[16:17]
	v_add_f64 v[57:58], v[57:58], -v[14:15]
	v_add_f64 v[154:155], v[55:56], -v[44:45]
	v_add_f64 v[156:157], v[18:19], -v[30:31]
	v_add_f64 v[160:161], v[44:45], -v[55:56]
	v_fma_f64 v[86:87], v[86:87], -0.5, v[4:5]
	v_add_f64 v[55:56], v[55:56], -v[18:19]
	v_fma_f64 v[4:5], v[88:89], -0.5, v[4:5]
	v_fma_f64 v[88:89], v[90:91], -0.5, v[6:7]
	;; [unrolled: 1-line block ×3, first 2 shown]
	v_add_f64 v[90:91], v[34:35], -v[22:23]
	v_add_f64 v[92:93], v[40:41], -v[28:29]
	v_fma_f64 v[94:95], v[94:95], -0.5, v[82:83]
	v_fma_f64 v[82:83], v[96:97], -0.5, v[82:83]
	v_fma_f64 v[96:97], v[98:99], -0.5, v[84:85]
	v_add_f64 v[98:99], v[38:39], -v[26:27]
	v_fma_f64 v[84:85], v[100:101], -0.5, v[84:85]
	v_add_f64 v[112:113], v[12:13], -v[24:25]
	v_add_f64 v[162:163], v[30:31], -v[18:19]
	v_add_f64 v[102:103], v[102:103], v[104:105]
	v_add_f64 v[104:105], v[42:43], -v[32:33]
	v_fma_f64 v[120:121], v[120:121], -0.5, v[0:1]
	v_fma_f64 v[0:1], v[122:123], -0.5, v[0:1]
	;; [unrolled: 1-line block ×4, first 2 shown]
	v_add_f64 v[126:127], v[46:47], -v[20:21]
	v_add_f64 v[106:107], v[106:107], v[108:109]
	v_add_f64 v[108:109], v[44:45], -v[30:31]
	v_add_f64 v[34:35], v[130:131], v[34:35]
	v_add_f64 v[36:37], v[132:133], v[36:37]
	v_add_f64 v[100:101], v[46:47], -v[42:43]
	v_add_f64 v[46:47], v[42:43], -v[46:47]
	v_add_f64 v[114:115], v[114:115], v[116:117]
	v_add_f64 v[116:117], v[118:119], v[128:129]
	;; [unrolled: 1-line block ×9, first 2 shown]
	v_add_f64 v[124:125], v[20:21], -v[32:33]
	v_add_f64 v[132:133], v[154:155], v[156:157]
	v_fma_f64 v[136:137], v[63:64], s[14:15], v[86:87]
	v_fma_f64 v[86:87], v[63:64], s[16:17], v[86:87]
	;; [unrolled: 1-line block ×16, first 2 shown]
	v_add_f64 v[110:111], v[110:111], v[112:113]
	v_add_f64 v[112:113], v[32:33], -v[20:21]
	v_fma_f64 v[158:159], v[55:56], s[16:17], v[122:123]
	v_add_f64 v[134:135], v[160:161], v[162:163]
	v_mov_b32_e32 v163, v9
	v_fma_f64 v[154:155], v[126:127], s[14:15], v[120:121]
	v_fma_f64 v[120:121], v[126:127], s[16:17], v[120:121]
	;; [unrolled: 1-line block ×7, first 2 shown]
	v_add_f64 v[22:23], v[34:35], v[22:23]
	v_add_f64 v[34:35], v[36:37], v[24:25]
	;; [unrolled: 1-line block ×6, first 2 shown]
	v_mul_lo_u16 v164, v164, 41
	v_mul_lo_u16 v165, v165, 41
	v_add_f64 v[100:101], v[100:101], v[124:125]
	v_lshlrev_b64 v[124:125], 4, v[8:9]
	v_fma_f64 v[36:37], v[150:151], s[10:11], v[136:137]
	v_fma_f64 v[38:39], v[150:151], s[12:13], v[86:87]
	;; [unrolled: 1-line block ×16, first 2 shown]
	v_and_b32_e32 v8, 0xffff, v73
	v_add_f64 v[46:47], v[46:47], v[112:113]
	v_lshlrev_b32_e32 v162, 1, v81
	v_and_b32_e32 v24, 0xffff, v80
	v_lshrrev_b16 v25, 11, v164
	v_fma_f64 v[96:97], v[104:105], s[10:11], v[154:155]
	v_fma_f64 v[98:99], v[104:105], s[12:13], v[120:121]
	;; [unrolled: 1-line block ×8, first 2 shown]
	v_add_f64 v[2:3], v[22:23], v[10:11]
	v_add_f64 v[4:5], v[34:35], v[12:13]
	;; [unrolled: 1-line block ×6, first 2 shown]
	v_add_co_u32 v0, s1, s8, v65
	s_delay_alu instid0(VALU_DEP_1)
	v_add_co_ci_u32_e64 v1, s1, s9, v66, s1
	v_fma_f64 v[18:19], v[102:103], s[4:5], v[36:37]
	v_fma_f64 v[30:31], v[106:107], s[4:5], v[40:41]
	;; [unrolled: 1-line block ×16, first 2 shown]
	v_lshrrev_b16 v73, 11, v165
	v_mad_u32_u24 v8, 0x320, v8, 0
	v_and_b32_e32 v23, 0xffff, v78
	v_lshlrev_b64 v[6:7], 4, v[162:163]
	v_fma_f64 v[63:64], v[132:133], s[4:5], v[96:97]
	v_fma_f64 v[82:83], v[132:133], s[4:5], v[98:99]
	;; [unrolled: 1-line block ×8, first 2 shown]
	v_lshlrev_b32_e32 v47, 4, v76
	v_mad_u32_u24 v22, 0x320, v24, 0
	v_mul_lo_u16 v24, v25, 50
	v_mul_lo_u16 v46, v73, 50
	v_lshlrev_b32_e32 v73, 4, v77
	v_mad_u32_u24 v23, 0x320, v23, 0
	v_add3_u32 v8, v8, v47, v70
	v_lshlrev_b32_e32 v47, 4, v79
	v_add_co_u32 v6, s1, s8, v6
	v_sub_nc_u16 v24, v75, v24
	v_add_co_ci_u32_e64 v7, s1, s9, v7, s1
	v_sub_nc_u16 v46, v74, v46
	v_add3_u32 v22, v22, v73, v70
	s_barrier
	buffer_gl0_inv
	v_add3_u32 v23, v23, v47, v70
	ds_store_b128 v8, v[2:5]
	ds_store_b128 v8, v[18:21] offset:160
	ds_store_b128 v8, v[30:33] offset:320
	ds_store_b128 v8, v[34:37] offset:480
	ds_store_b128 v8, v[26:29] offset:640
	ds_store_b128 v22, v[10:13]
	ds_store_b128 v22, v[38:41] offset:160
	ds_store_b128 v22, v[55:58] offset:320
	ds_store_b128 v22, v[59:62] offset:480
	ds_store_b128 v22, v[42:45] offset:640
	;; [unrolled: 5-line block ×3, first 2 shown]
	v_add_co_u32 v22, s1, s8, v124
	s_waitcnt lgkmcnt(0)
	s_barrier
	buffer_gl0_inv
	s_clause 0x1
	global_load_b128 v[2:5], v[0:1], off offset:640
	global_load_b128 v[10:13], v[0:1], off offset:656
	v_and_b32_e32 v24, 0xff, v24
	v_add_co_ci_u32_e64 v23, s1, s9, v125, s1
	s_clause 0x1
	global_load_b128 v[14:17], v[6:7], off offset:640
	global_load_b128 v[18:21], v[6:7], off offset:656
	v_and_b32_e32 v26, 0xff, v46
	v_lshlrev_b32_e32 v6, 5, v24
	s_clause 0x1
	global_load_b128 v[27:30], v[22:23], off offset:640
	global_load_b128 v[31:34], v[22:23], off offset:656
	s_mov_b32 s4, 0xe8584caa
	s_mov_b32 s5, 0x3febb67a
	v_lshlrev_b32_e32 v7, 5, v26
	s_clause 0x3
	global_load_b128 v[35:38], v6, s[8:9] offset:640
	global_load_b128 v[39:42], v6, s[8:9] offset:656
	;; [unrolled: 1-line block ×4, first 2 shown]
	ds_load_b128 v[59:62], v69 offset:2400
	ds_load_b128 v[63:66], v69 offset:4800
	;; [unrolled: 1-line block ×10, first 2 shown]
	s_mov_b32 s11, 0xbfebb67a
	s_mov_b32 s10, s4
	v_lshlrev_b32_e32 v73, 4, v81
	v_lshlrev_b32_e32 v8, 1, v54
	v_cmp_lt_u32_e64 s1, 19, v50
	v_and_b32_e32 v25, 0xffff, v25
	v_lshlrev_b32_e32 v24, 4, v24
	v_lshlrev_b32_e32 v26, 4, v26
	v_lshlrev_b64 v[126:127], 4, v[8:9]
	v_lshlrev_b32_e32 v8, 1, v71
	v_cndmask_b32_e64 v47, 0, 0x960, s1
	v_mad_u32_u24 v25, 0x960, v25, 0
	s_delay_alu instid0(VALU_DEP_2) | instskip(NEXT) | instid1(VALU_DEP_1)
	v_add_nc_u32_e32 v47, 0, v47
	v_add3_u32 v47, v47, v73, v70
	s_waitcnt vmcnt(9) lgkmcnt(9)
	v_mul_f64 v[6:7], v[61:62], v[4:5]
	v_mul_f64 v[4:5], v[59:60], v[4:5]
	s_waitcnt vmcnt(8) lgkmcnt(8)
	v_mul_f64 v[22:23], v[65:66], v[12:13]
	v_mul_f64 v[12:13], v[63:64], v[12:13]
	;; [unrolled: 3-line block ×8, first 2 shown]
	s_waitcnt vmcnt(1) lgkmcnt(1)
	v_mul_f64 v[122:123], v[104:105], v[45:46]
	s_waitcnt vmcnt(0) lgkmcnt(0)
	v_mul_f64 v[124:125], v[108:109], v[57:58]
	v_mul_f64 v[45:46], v[102:103], v[45:46]
	;; [unrolled: 1-line block ×3, first 2 shown]
	v_fma_f64 v[59:60], v[59:60], v[2:3], -v[6:7]
	v_fma_f64 v[61:62], v[61:62], v[2:3], v[4:5]
	v_fma_f64 v[2:3], v[63:64], v[10:11], -v[22:23]
	v_fma_f64 v[4:5], v[65:66], v[10:11], v[12:13]
	;; [unrolled: 2-line block ×8, first 2 shown]
	v_fma_f64 v[86:87], v[102:103], v[43:44], -v[122:123]
	v_fma_f64 v[20:21], v[106:107], v[55:56], -v[124:125]
	v_fma_f64 v[88:89], v[104:105], v[43:44], v[45:46]
	v_fma_f64 v[22:23], v[108:109], v[55:56], v[57:58]
	ds_load_b128 v[27:30], v68
	ds_load_b128 v[35:38], v69 offset:960
	ds_load_b128 v[31:34], v72
	ds_load_b128 v[39:42], v69 offset:1440
	ds_load_b128 v[43:46], v69 offset:1920
	s_waitcnt lgkmcnt(0)
	s_barrier
	buffer_gl0_inv
	v_add_f64 v[55:56], v[59:60], v[2:3]
	v_add_f64 v[57:58], v[61:62], v[4:5]
	;; [unrolled: 1-line block ×3, first 2 shown]
	v_add_f64 v[108:109], v[61:62], -v[4:5]
	v_add_f64 v[61:62], v[29:30], v[61:62]
	v_add_f64 v[90:91], v[63:64], v[6:7]
	;; [unrolled: 1-line block ×3, first 2 shown]
	v_add_f64 v[59:60], v[59:60], -v[2:3]
	v_add_f64 v[110:111], v[31:32], v[63:64]
	v_add_f64 v[94:95], v[76:77], v[12:13]
	;; [unrolled: 1-line block ×4, first 2 shown]
	v_add_f64 v[65:66], v[65:66], -v[10:11]
	v_add_f64 v[98:99], v[82:83], v[16:17]
	v_add_f64 v[100:101], v[84:85], v[18:19]
	v_add_f64 v[63:64], v[63:64], -v[6:7]
	v_add_f64 v[102:103], v[86:87], v[20:21]
	v_add_f64 v[114:115], v[35:36], v[76:77]
	;; [unrolled: 1-line block ×4, first 2 shown]
	v_add_f64 v[78:79], v[78:79], -v[14:15]
	v_add_f64 v[76:77], v[76:77], -v[12:13]
	v_add_f64 v[118:119], v[39:40], v[82:83]
	v_add_f64 v[120:121], v[41:42], v[84:85]
	v_add_f64 v[84:85], v[84:85], -v[18:19]
	v_add_f64 v[82:83], v[82:83], -v[16:17]
	v_add_f64 v[122:123], v[43:44], v[86:87]
	v_add_f64 v[124:125], v[45:46], v[88:89]
	v_add_f64 v[88:89], v[88:89], -v[22:23]
	v_add_f64 v[86:87], v[86:87], -v[20:21]
	v_fma_f64 v[55:56], v[55:56], -0.5, v[27:28]
	v_fma_f64 v[57:58], v[57:58], -0.5, v[29:30]
	v_add_f64 v[2:3], v[106:107], v[2:3]
	v_add_f64 v[4:5], v[61:62], v[4:5]
	v_fma_f64 v[90:91], v[90:91], -0.5, v[31:32]
	v_fma_f64 v[92:93], v[92:93], -0.5, v[33:34]
	v_add_f64 v[27:28], v[110:111], v[6:7]
	v_fma_f64 v[94:95], v[94:95], -0.5, v[35:36]
	v_fma_f64 v[96:97], v[96:97], -0.5, v[37:38]
	v_add_f64 v[29:30], v[112:113], v[10:11]
	v_lshlrev_b64 v[6:7], 4, v[8:9]
	v_fma_f64 v[98:99], v[98:99], -0.5, v[39:40]
	v_fma_f64 v[100:101], v[100:101], -0.5, v[41:42]
	v_lshlrev_b32_e32 v8, 1, v75
	v_fma_f64 v[102:103], v[102:103], -0.5, v[43:44]
	v_add_f64 v[10:11], v[114:115], v[12:13]
	v_fma_f64 v[104:105], v[104:105], -0.5, v[45:46]
	v_add_f64 v[12:13], v[116:117], v[14:15]
	v_add_f64 v[14:15], v[118:119], v[16:17]
	v_add_f64 v[16:17], v[120:121], v[18:19]
	v_add_f64 v[18:19], v[122:123], v[20:21]
	v_add_f64 v[20:21], v[124:125], v[22:23]
	v_add_co_u32 v22, s1, s8, v126
	s_delay_alu instid0(VALU_DEP_1) | instskip(SKIP_1) | instid1(VALU_DEP_1)
	v_add_co_ci_u32_e64 v23, s1, s9, v127, s1
	v_add_co_u32 v6, s1, s8, v6
	v_add_co_ci_u32_e64 v7, s1, s9, v7, s1
	v_fma_f64 v[31:32], v[108:109], s[4:5], v[55:56]
	v_fma_f64 v[33:34], v[59:60], s[10:11], v[57:58]
	;; [unrolled: 1-line block ×20, first 2 shown]
	v_lshlrev_b64 v[88:89], 4, v[8:9]
	v_lshlrev_b32_e32 v8, 1, v74
	s_delay_alu instid0(VALU_DEP_1)
	v_lshlrev_b64 v[73:74], 4, v[8:9]
	v_add3_u32 v8, v25, v24, v70
	v_add3_u32 v24, 0, v26, v70
	ds_store_b128 v69, v[2:5]
	ds_store_b128 v69, v[31:34] offset:800
	ds_store_b128 v69, v[35:38] offset:1600
	ds_store_b128 v47, v[27:30]
	ds_store_b128 v47, v[39:42] offset:800
	ds_store_b128 v47, v[43:46] offset:1600
	ds_store_b128 v69, v[10:13] offset:2560
	ds_store_b128 v69, v[55:58] offset:3360
	ds_store_b128 v69, v[59:62] offset:4160
	ds_store_b128 v8, v[14:17]
	ds_store_b128 v8, v[63:66] offset:800
	ds_store_b128 v8, v[76:79] offset:1600
	;; [unrolled: 1-line block ×5, first 2 shown]
	s_waitcnt lgkmcnt(0)
	s_barrier
	buffer_gl0_inv
	s_clause 0x3
	global_load_b128 v[2:5], v[0:1], off offset:2256
	global_load_b128 v[10:13], v[0:1], off offset:2240
	;; [unrolled: 1-line block ×4, first 2 shown]
	v_add_co_u32 v0, s1, s8, v88
	s_delay_alu instid0(VALU_DEP_1) | instskip(SKIP_4) | instid1(VALU_DEP_1)
	v_add_co_ci_u32_e64 v1, s1, s9, v89, s1
	s_clause 0x1
	global_load_b128 v[22:25], v[6:7], off offset:2256
	global_load_b128 v[26:29], v[6:7], off offset:2240
	v_add_co_u32 v6, s1, s8, v73
	v_add_co_ci_u32_e64 v7, s1, s9, v74, s1
	s_clause 0x3
	global_load_b128 v[30:33], v[0:1], off offset:2240
	global_load_b128 v[34:37], v[0:1], off offset:2256
	;; [unrolled: 1-line block ×4, first 2 shown]
	ds_load_b128 v[55:58], v69 offset:2400
	ds_load_b128 v[59:62], v69 offset:4800
	;; [unrolled: 1-line block ×10, first 2 shown]
	v_sub_nc_u32_e32 v8, v67, v51
	s_waitcnt vmcnt(8) lgkmcnt(9)
	v_mul_f64 v[0:1], v[57:58], v[12:13]
	v_mul_f64 v[6:7], v[55:56], v[12:13]
	s_waitcnt lgkmcnt(8)
	v_mul_f64 v[12:13], v[61:62], v[4:5]
	v_mul_f64 v[4:5], v[59:60], v[4:5]
	s_waitcnt vmcnt(6) lgkmcnt(7)
	v_mul_f64 v[46:47], v[65:66], v[20:21]
	v_mul_f64 v[20:21], v[63:64], v[20:21]
	s_waitcnt lgkmcnt(6)
	v_mul_f64 v[70:71], v[75:76], v[16:17]
	v_mul_f64 v[16:17], v[73:74], v[16:17]
	;; [unrolled: 6-line block ×3, first 2 shown]
	s_waitcnt vmcnt(3) lgkmcnt(3)
	v_mul_f64 v[105:106], v[87:88], v[32:33]
	v_mul_f64 v[32:33], v[85:86], v[32:33]
	s_waitcnt vmcnt(2) lgkmcnt(2)
	v_mul_f64 v[107:108], v[91:92], v[36:37]
	v_mul_f64 v[36:37], v[89:90], v[36:37]
	s_waitcnt vmcnt(1) lgkmcnt(1)
	v_mul_f64 v[109:110], v[95:96], v[40:41]
	s_waitcnt vmcnt(0) lgkmcnt(0)
	v_mul_f64 v[111:112], v[99:100], v[44:45]
	v_mul_f64 v[40:41], v[93:94], v[40:41]
	;; [unrolled: 1-line block ×3, first 2 shown]
	v_fma_f64 v[55:56], v[55:56], v[10:11], -v[0:1]
	v_fma_f64 v[57:58], v[57:58], v[10:11], v[6:7]
	v_fma_f64 v[59:60], v[59:60], v[2:3], -v[12:13]
	v_fma_f64 v[61:62], v[61:62], v[2:3], v[4:5]
	;; [unrolled: 2-line block ×8, first 2 shown]
	v_fma_f64 v[36:37], v[93:94], v[38:39], -v[109:110]
	v_fma_f64 v[75:76], v[97:98], v[42:43], -v[111:112]
	v_fma_f64 v[38:39], v[95:96], v[38:39], v[40:41]
	v_fma_f64 v[40:41], v[99:100], v[42:43], v[44:45]
	ds_load_b128 v[0:3], v68
	ds_load_b128 v[10:13], v69 offset:960
	ds_load_b128 v[4:7], v72
	ds_load_b128 v[14:17], v69 offset:1440
	ds_load_b128 v[18:21], v69 offset:1920
	s_waitcnt lgkmcnt(0)
	s_barrier
	buffer_gl0_inv
	v_add_f64 v[42:43], v[55:56], v[59:60]
	v_add_f64 v[44:45], v[57:58], v[61:62]
	;; [unrolled: 1-line block ×3, first 2 shown]
	v_add_f64 v[95:96], v[57:58], -v[61:62]
	v_add_f64 v[77:78], v[46:47], v[65:66]
	v_add_f64 v[79:80], v[63:64], v[70:71]
	;; [unrolled: 1-line block ×6, first 2 shown]
	v_add_f64 v[55:56], v[55:56], -v[59:60]
	v_add_f64 v[101:102], v[10:11], v[73:74]
	v_add_f64 v[85:86], v[24:25], v[32:33]
	v_add_f64 v[87:88], v[30:31], v[34:35]
	v_add_f64 v[97:98], v[4:5], v[46:47]
	v_add_f64 v[89:90], v[36:37], v[75:76]
	v_add_f64 v[99:100], v[6:7], v[63:64]
	v_add_f64 v[91:92], v[38:39], v[40:41]
	v_add_f64 v[105:106], v[14:15], v[24:25]
	v_add_f64 v[63:64], v[63:64], -v[70:71]
	v_add_f64 v[46:47], v[46:47], -v[65:66]
	v_add_f64 v[107:108], v[16:17], v[30:31]
	v_add_f64 v[113:114], v[26:27], -v[22:23]
	v_add_f64 v[73:74], v[73:74], -v[28:29]
	;; [unrolled: 1-line block ×4, first 2 shown]
	v_add_f64 v[111:112], v[20:21], v[38:39]
	v_add_f64 v[109:110], v[18:19], v[36:37]
	v_add_f64 v[119:120], v[38:39], -v[40:41]
	v_add_f64 v[121:122], v[36:37], -v[75:76]
	v_fma_f64 v[42:43], v[42:43], -0.5, v[0:1]
	v_fma_f64 v[44:45], v[44:45], -0.5, v[2:3]
	v_add_f64 v[0:1], v[93:94], v[59:60]
	v_fma_f64 v[77:78], v[77:78], -0.5, v[4:5]
	v_fma_f64 v[79:80], v[79:80], -0.5, v[6:7]
	v_add_f64 v[2:3], v[57:58], v[61:62]
	;; [unrolled: 3-line block ×3, first 2 shown]
	v_add_f64 v[10:11], v[101:102], v[28:29]
	v_fma_f64 v[85:86], v[85:86], -0.5, v[14:15]
	v_fma_f64 v[87:88], v[87:88], -0.5, v[16:17]
	v_add_f64 v[4:5], v[97:98], v[65:66]
	v_fma_f64 v[89:90], v[89:90], -0.5, v[18:19]
	v_add_f64 v[6:7], v[99:100], v[70:71]
	;; [unrolled: 2-line block ×3, first 2 shown]
	v_add_f64 v[16:17], v[107:108], v[34:35]
	v_add_f64 v[20:21], v[111:112], v[40:41]
	;; [unrolled: 1-line block ×3, first 2 shown]
	v_fma_f64 v[22:23], v[95:96], s[4:5], v[42:43]
	v_fma_f64 v[24:25], v[55:56], s[10:11], v[44:45]
	;; [unrolled: 1-line block ×20, first 2 shown]
	ds_store_b128 v69, v[0:3]
	ds_store_b128 v69, v[22:25] offset:2400
	ds_store_b128 v69, v[26:29] offset:4800
	ds_store_b128 v72, v[4:7]
	ds_store_b128 v72, v[30:33] offset:2400
	ds_store_b128 v72, v[34:37] offset:4800
	;; [unrolled: 1-line block ×11, first 2 shown]
	s_waitcnt lgkmcnt(0)
	s_barrier
	buffer_gl0_inv
	ds_load_b128 v[4:7], v68
	s_add_u32 s4, s8, 0x1b80
	s_addc_u32 s5, s9, 0
	s_mov_b32 s8, exec_lo
                                        ; implicit-def: $vgpr2_vgpr3
                                        ; implicit-def: $vgpr10_vgpr11
                                        ; implicit-def: $vgpr12_vgpr13
	v_cmpx_ne_u32_e32 0, v50
	s_xor_b32 s8, exec_lo, s8
	s_cbranch_execz .LBB0_17
; %bb.16:
	v_mov_b32_e32 v51, v9
	s_delay_alu instid0(VALU_DEP_1) | instskip(NEXT) | instid1(VALU_DEP_1)
	v_lshlrev_b64 v[0:1], 4, v[50:51]
	v_add_co_u32 v0, s1, s4, v0
	s_delay_alu instid0(VALU_DEP_1)
	v_add_co_ci_u32_e64 v1, s1, s5, v1, s1
	global_load_b128 v[12:15], v[0:1], off
	ds_load_b128 v[0:3], v8 offset:7200
	s_waitcnt lgkmcnt(0)
	v_add_f64 v[9:10], v[4:5], -v[0:1]
	v_add_f64 v[16:17], v[6:7], v[2:3]
	v_add_f64 v[2:3], v[6:7], -v[2:3]
	v_add_f64 v[0:1], v[4:5], v[0:1]
	s_delay_alu instid0(VALU_DEP_4) | instskip(NEXT) | instid1(VALU_DEP_4)
	v_mul_f64 v[6:7], v[9:10], 0.5
	v_mul_f64 v[4:5], v[16:17], 0.5
	s_delay_alu instid0(VALU_DEP_4) | instskip(SKIP_1) | instid1(VALU_DEP_3)
	v_mul_f64 v[2:3], v[2:3], 0.5
	s_waitcnt vmcnt(0)
	v_mul_f64 v[9:10], v[6:7], v[14:15]
	s_delay_alu instid0(VALU_DEP_2) | instskip(SKIP_1) | instid1(VALU_DEP_3)
	v_fma_f64 v[16:17], v[4:5], v[14:15], v[2:3]
	v_fma_f64 v[2:3], v[4:5], v[14:15], -v[2:3]
	v_fma_f64 v[18:19], v[0:1], 0.5, v[9:10]
	v_fma_f64 v[0:1], v[0:1], 0.5, -v[9:10]
	s_delay_alu instid0(VALU_DEP_4) | instskip(NEXT) | instid1(VALU_DEP_4)
	v_fma_f64 v[10:11], -v[12:13], v[6:7], v[16:17]
	v_fma_f64 v[2:3], -v[12:13], v[6:7], v[2:3]
	s_delay_alu instid0(VALU_DEP_4) | instskip(NEXT) | instid1(VALU_DEP_4)
	v_fma_f64 v[14:15], v[4:5], v[12:13], v[18:19]
	v_fma_f64 v[0:1], -v[4:5], v[12:13], v[0:1]
	v_dual_mov_b32 v12, v50 :: v_dual_mov_b32 v13, v51
                                        ; implicit-def: $vgpr4_vgpr5
	ds_store_b64 v68, v[14:15]
.LBB0_17:
	s_and_not1_saveexec_b32 s1, s8
	s_cbranch_execz .LBB0_19
; %bb.18:
	s_waitcnt lgkmcnt(0)
	v_add_f64 v[14:15], v[4:5], v[6:7]
	v_add_f64 v[0:1], v[4:5], -v[6:7]
	ds_load_b64 v[4:5], v67 offset:3608
	v_mov_b32_e32 v10, 0
	v_dual_mov_b32 v11, 0 :: v_dual_mov_b32 v12, 0
	s_delay_alu instid0(VALU_DEP_2) | instskip(NEXT) | instid1(VALU_DEP_2)
	v_dual_mov_b32 v13, 0 :: v_dual_mov_b32 v2, v10
	v_mov_b32_e32 v3, v11
	s_waitcnt lgkmcnt(0)
	v_xor_b32_e32 v5, 0x80000000, v5
	ds_store_b64 v68, v[14:15]
	ds_store_b64 v67, v[4:5] offset:3608
.LBB0_19:
	s_or_b32 exec_lo, exec_lo, s1
	v_mov_b32_e32 v55, 0
	v_lshl_add_u32 v26, v54, 4, v67
	s_waitcnt lgkmcnt(0)
	s_delay_alu instid0(VALU_DEP_2) | instskip(NEXT) | instid1(VALU_DEP_1)
	v_lshlrev_b64 v[4:5], 4, v[54:55]
	v_add_co_u32 v4, s1, s4, v4
	s_delay_alu instid0(VALU_DEP_1) | instskip(SKIP_2) | instid1(VALU_DEP_1)
	v_add_co_ci_u32_e64 v5, s1, s5, v5, s1
	global_load_b128 v[14:17], v[4:5], off
	v_lshlrev_b64 v[4:5], 4, v[12:13]
	v_add_co_u32 v4, s1, s4, v4
	s_delay_alu instid0(VALU_DEP_1)
	v_add_co_ci_u32_e64 v5, s1, s5, v5, s1
	global_load_b128 v[18:21], v[4:5], off offset:960
	ds_store_b64 v68, v[10:11] offset:8
	ds_store_b128 v8, v[0:3] offset:7200
	ds_load_b128 v[0:3], v8 offset:6720
	ds_load_b128 v[9:12], v26
	s_waitcnt lgkmcnt(0)
	v_add_f64 v[6:7], v[9:10], -v[0:1]
	v_add_f64 v[22:23], v[11:12], v[2:3]
	v_add_f64 v[2:3], v[11:12], -v[2:3]
	v_add_f64 v[0:1], v[9:10], v[0:1]
	s_delay_alu instid0(VALU_DEP_4) | instskip(NEXT) | instid1(VALU_DEP_4)
	v_mul_f64 v[6:7], v[6:7], 0.5
	v_mul_f64 v[22:23], v[22:23], 0.5
	s_delay_alu instid0(VALU_DEP_4) | instskip(SKIP_1) | instid1(VALU_DEP_3)
	v_mul_f64 v[2:3], v[2:3], 0.5
	s_waitcnt vmcnt(1)
	v_mul_f64 v[9:10], v[6:7], v[16:17]
	s_delay_alu instid0(VALU_DEP_2) | instskip(SKIP_1) | instid1(VALU_DEP_3)
	v_fma_f64 v[11:12], v[22:23], v[16:17], v[2:3]
	v_fma_f64 v[16:17], v[22:23], v[16:17], -v[2:3]
	v_fma_f64 v[24:25], v[0:1], 0.5, v[9:10]
	v_fma_f64 v[9:10], v[0:1], 0.5, -v[9:10]
	s_delay_alu instid0(VALU_DEP_4) | instskip(NEXT) | instid1(VALU_DEP_4)
	v_fma_f64 v[2:3], -v[14:15], v[6:7], v[11:12]
	v_fma_f64 v[11:12], -v[14:15], v[6:7], v[16:17]
	s_delay_alu instid0(VALU_DEP_4) | instskip(NEXT) | instid1(VALU_DEP_4)
	v_fma_f64 v[0:1], v[22:23], v[14:15], v[24:25]
	v_fma_f64 v[9:10], -v[22:23], v[14:15], v[9:10]
	global_load_b128 v[13:16], v[4:5], off offset:1440
	ds_store_b128 v26, v[0:3]
	ds_store_b128 v8, v[9:12] offset:6720
	ds_load_b128 v[0:3], v68 offset:960
	ds_load_b128 v[9:12], v8 offset:6240
	s_waitcnt lgkmcnt(0)
	v_add_f64 v[6:7], v[0:1], -v[9:10]
	v_add_f64 v[22:23], v[2:3], v[11:12]
	v_add_f64 v[2:3], v[2:3], -v[11:12]
	v_add_f64 v[0:1], v[0:1], v[9:10]
	s_delay_alu instid0(VALU_DEP_4) | instskip(NEXT) | instid1(VALU_DEP_4)
	v_mul_f64 v[6:7], v[6:7], 0.5
	v_mul_f64 v[22:23], v[22:23], 0.5
	s_delay_alu instid0(VALU_DEP_4) | instskip(SKIP_1) | instid1(VALU_DEP_3)
	v_mul_f64 v[2:3], v[2:3], 0.5
	s_waitcnt vmcnt(1)
	v_mul_f64 v[9:10], v[6:7], v[20:21]
	s_delay_alu instid0(VALU_DEP_2) | instskip(SKIP_1) | instid1(VALU_DEP_3)
	v_fma_f64 v[11:12], v[22:23], v[20:21], v[2:3]
	v_fma_f64 v[20:21], v[22:23], v[20:21], -v[2:3]
	v_fma_f64 v[24:25], v[0:1], 0.5, v[9:10]
	v_fma_f64 v[9:10], v[0:1], 0.5, -v[9:10]
	s_delay_alu instid0(VALU_DEP_4) | instskip(NEXT) | instid1(VALU_DEP_4)
	v_fma_f64 v[2:3], -v[18:19], v[6:7], v[11:12]
	v_fma_f64 v[11:12], -v[18:19], v[6:7], v[20:21]
	s_delay_alu instid0(VALU_DEP_4) | instskip(NEXT) | instid1(VALU_DEP_4)
	v_fma_f64 v[0:1], v[22:23], v[18:19], v[24:25]
	v_fma_f64 v[9:10], -v[22:23], v[18:19], v[9:10]
	global_load_b128 v[17:20], v[4:5], off offset:1920
	ds_store_b128 v68, v[0:3] offset:960
	ds_store_b128 v8, v[9:12] offset:6240
	ds_load_b128 v[0:3], v68 offset:1440
	ds_load_b128 v[9:12], v8 offset:5760
	s_waitcnt lgkmcnt(0)
	v_add_f64 v[6:7], v[0:1], -v[9:10]
	v_add_f64 v[21:22], v[2:3], v[11:12]
	v_add_f64 v[2:3], v[2:3], -v[11:12]
	v_add_f64 v[0:1], v[0:1], v[9:10]
	s_delay_alu instid0(VALU_DEP_4) | instskip(NEXT) | instid1(VALU_DEP_4)
	v_mul_f64 v[6:7], v[6:7], 0.5
	v_mul_f64 v[21:22], v[21:22], 0.5
	s_delay_alu instid0(VALU_DEP_4) | instskip(SKIP_1) | instid1(VALU_DEP_3)
	v_mul_f64 v[2:3], v[2:3], 0.5
	s_waitcnt vmcnt(1)
	v_mul_f64 v[9:10], v[6:7], v[15:16]
	s_delay_alu instid0(VALU_DEP_2) | instskip(SKIP_1) | instid1(VALU_DEP_3)
	v_fma_f64 v[11:12], v[21:22], v[15:16], v[2:3]
	v_fma_f64 v[15:16], v[21:22], v[15:16], -v[2:3]
	v_fma_f64 v[23:24], v[0:1], 0.5, v[9:10]
	v_fma_f64 v[9:10], v[0:1], 0.5, -v[9:10]
	s_delay_alu instid0(VALU_DEP_4) | instskip(NEXT) | instid1(VALU_DEP_4)
	v_fma_f64 v[2:3], -v[13:14], v[6:7], v[11:12]
	v_fma_f64 v[11:12], -v[13:14], v[6:7], v[15:16]
	s_delay_alu instid0(VALU_DEP_4) | instskip(NEXT) | instid1(VALU_DEP_4)
	v_fma_f64 v[0:1], v[21:22], v[13:14], v[23:24]
	v_fma_f64 v[9:10], -v[21:22], v[13:14], v[9:10]
	global_load_b128 v[13:16], v[4:5], off offset:2400
	ds_store_b128 v68, v[0:3] offset:1440
	ds_store_b128 v8, v[9:12] offset:5760
	ds_load_b128 v[0:3], v68 offset:1920
	ds_load_b128 v[9:12], v8 offset:5280
	s_waitcnt lgkmcnt(0)
	v_add_f64 v[6:7], v[0:1], -v[9:10]
	v_add_f64 v[21:22], v[2:3], v[11:12]
	v_add_f64 v[2:3], v[2:3], -v[11:12]
	v_add_f64 v[0:1], v[0:1], v[9:10]
	s_delay_alu instid0(VALU_DEP_4) | instskip(NEXT) | instid1(VALU_DEP_4)
	v_mul_f64 v[6:7], v[6:7], 0.5
	v_mul_f64 v[21:22], v[21:22], 0.5
	s_delay_alu instid0(VALU_DEP_4) | instskip(SKIP_1) | instid1(VALU_DEP_3)
	v_mul_f64 v[2:3], v[2:3], 0.5
	s_waitcnt vmcnt(1)
	v_mul_f64 v[9:10], v[6:7], v[19:20]
	s_delay_alu instid0(VALU_DEP_2) | instskip(SKIP_1) | instid1(VALU_DEP_3)
	v_fma_f64 v[11:12], v[21:22], v[19:20], v[2:3]
	v_fma_f64 v[19:20], v[21:22], v[19:20], -v[2:3]
	v_fma_f64 v[23:24], v[0:1], 0.5, v[9:10]
	v_fma_f64 v[9:10], v[0:1], 0.5, -v[9:10]
	s_delay_alu instid0(VALU_DEP_4) | instskip(NEXT) | instid1(VALU_DEP_4)
	v_fma_f64 v[2:3], -v[17:18], v[6:7], v[11:12]
	v_fma_f64 v[11:12], -v[17:18], v[6:7], v[19:20]
	s_delay_alu instid0(VALU_DEP_4) | instskip(NEXT) | instid1(VALU_DEP_4)
	v_fma_f64 v[0:1], v[21:22], v[17:18], v[23:24]
	v_fma_f64 v[9:10], -v[21:22], v[17:18], v[9:10]
	global_load_b128 v[17:20], v[4:5], off offset:2880
	ds_store_b128 v68, v[0:3] offset:1920
	ds_store_b128 v8, v[9:12] offset:5280
	ds_load_b128 v[0:3], v68 offset:2400
	ds_load_b128 v[9:12], v8 offset:4800
	s_waitcnt lgkmcnt(0)
	v_add_f64 v[6:7], v[0:1], -v[9:10]
	v_add_f64 v[21:22], v[2:3], v[11:12]
	v_add_f64 v[2:3], v[2:3], -v[11:12]
	v_add_f64 v[0:1], v[0:1], v[9:10]
	s_delay_alu instid0(VALU_DEP_4) | instskip(NEXT) | instid1(VALU_DEP_4)
	v_mul_f64 v[6:7], v[6:7], 0.5
	v_mul_f64 v[21:22], v[21:22], 0.5
	s_delay_alu instid0(VALU_DEP_4) | instskip(SKIP_1) | instid1(VALU_DEP_3)
	v_mul_f64 v[2:3], v[2:3], 0.5
	s_waitcnt vmcnt(1)
	v_mul_f64 v[9:10], v[6:7], v[15:16]
	s_delay_alu instid0(VALU_DEP_2) | instskip(SKIP_1) | instid1(VALU_DEP_3)
	v_fma_f64 v[11:12], v[21:22], v[15:16], v[2:3]
	v_fma_f64 v[15:16], v[21:22], v[15:16], -v[2:3]
	v_fma_f64 v[23:24], v[0:1], 0.5, v[9:10]
	v_fma_f64 v[9:10], v[0:1], 0.5, -v[9:10]
	s_delay_alu instid0(VALU_DEP_4) | instskip(NEXT) | instid1(VALU_DEP_4)
	v_fma_f64 v[2:3], -v[13:14], v[6:7], v[11:12]
	v_fma_f64 v[11:12], -v[13:14], v[6:7], v[15:16]
	s_delay_alu instid0(VALU_DEP_4) | instskip(NEXT) | instid1(VALU_DEP_4)
	v_fma_f64 v[0:1], v[21:22], v[13:14], v[23:24]
	v_fma_f64 v[9:10], -v[21:22], v[13:14], v[9:10]
	ds_store_b128 v68, v[0:3] offset:2400
	ds_store_b128 v8, v[9:12] offset:4800
	ds_load_b128 v[0:3], v68 offset:2880
	ds_load_b128 v[9:12], v8 offset:4320
	s_waitcnt lgkmcnt(0)
	v_add_f64 v[6:7], v[0:1], -v[9:10]
	v_add_f64 v[13:14], v[2:3], v[11:12]
	v_add_f64 v[2:3], v[2:3], -v[11:12]
	v_add_f64 v[0:1], v[0:1], v[9:10]
	s_delay_alu instid0(VALU_DEP_4) | instskip(NEXT) | instid1(VALU_DEP_4)
	v_mul_f64 v[6:7], v[6:7], 0.5
	v_mul_f64 v[13:14], v[13:14], 0.5
	s_delay_alu instid0(VALU_DEP_4) | instskip(SKIP_1) | instid1(VALU_DEP_3)
	v_mul_f64 v[2:3], v[2:3], 0.5
	s_waitcnt vmcnt(0)
	v_mul_f64 v[9:10], v[6:7], v[19:20]
	s_delay_alu instid0(VALU_DEP_2) | instskip(SKIP_1) | instid1(VALU_DEP_3)
	v_fma_f64 v[11:12], v[13:14], v[19:20], v[2:3]
	v_fma_f64 v[15:16], v[13:14], v[19:20], -v[2:3]
	v_fma_f64 v[19:20], v[0:1], 0.5, v[9:10]
	v_fma_f64 v[9:10], v[0:1], 0.5, -v[9:10]
	s_delay_alu instid0(VALU_DEP_4) | instskip(NEXT) | instid1(VALU_DEP_4)
	v_fma_f64 v[2:3], -v[17:18], v[6:7], v[11:12]
	v_fma_f64 v[11:12], -v[17:18], v[6:7], v[15:16]
	s_delay_alu instid0(VALU_DEP_4) | instskip(NEXT) | instid1(VALU_DEP_4)
	v_fma_f64 v[0:1], v[13:14], v[17:18], v[19:20]
	v_fma_f64 v[9:10], -v[13:14], v[17:18], v[9:10]
	ds_store_b128 v68, v[0:3] offset:2880
	ds_store_b128 v8, v[9:12] offset:4320
	s_and_saveexec_b32 s1, s0
	s_cbranch_execz .LBB0_21
; %bb.20:
	global_load_b128 v[0:3], v[4:5], off offset:3360
	ds_load_b128 v[4:7], v68 offset:3360
	ds_load_b128 v[9:12], v8 offset:3840
	s_waitcnt lgkmcnt(0)
	v_add_f64 v[13:14], v[4:5], -v[9:10]
	v_add_f64 v[15:16], v[6:7], v[11:12]
	v_add_f64 v[6:7], v[6:7], -v[11:12]
	v_add_f64 v[4:5], v[4:5], v[9:10]
	s_delay_alu instid0(VALU_DEP_4) | instskip(NEXT) | instid1(VALU_DEP_4)
	v_mul_f64 v[11:12], v[13:14], 0.5
	v_mul_f64 v[13:14], v[15:16], 0.5
	s_delay_alu instid0(VALU_DEP_4) | instskip(SKIP_1) | instid1(VALU_DEP_3)
	v_mul_f64 v[6:7], v[6:7], 0.5
	s_waitcnt vmcnt(0)
	v_mul_f64 v[9:10], v[11:12], v[2:3]
	s_delay_alu instid0(VALU_DEP_2) | instskip(SKIP_1) | instid1(VALU_DEP_3)
	v_fma_f64 v[15:16], v[13:14], v[2:3], v[6:7]
	v_fma_f64 v[2:3], v[13:14], v[2:3], -v[6:7]
	v_fma_f64 v[6:7], v[4:5], 0.5, v[9:10]
	v_fma_f64 v[9:10], v[4:5], 0.5, -v[9:10]
	s_delay_alu instid0(VALU_DEP_4) | instskip(NEXT) | instid1(VALU_DEP_4)
	v_fma_f64 v[4:5], -v[0:1], v[11:12], v[15:16]
	v_fma_f64 v[11:12], -v[0:1], v[11:12], v[2:3]
	s_delay_alu instid0(VALU_DEP_4) | instskip(NEXT) | instid1(VALU_DEP_4)
	v_fma_f64 v[2:3], v[13:14], v[0:1], v[6:7]
	v_fma_f64 v[9:10], -v[13:14], v[0:1], v[9:10]
	ds_store_b128 v68, v[2:5] offset:3360
	ds_store_b128 v8, v[9:12] offset:3840
.LBB0_21:
	s_or_b32 exec_lo, exec_lo, s1
	s_waitcnt lgkmcnt(0)
	s_barrier
	buffer_gl0_inv
	s_and_saveexec_b32 s0, vcc_lo
	s_cbranch_execz .LBB0_24
; %bb.22:
	v_mul_lo_u32 v0, s3, v52
	v_mul_lo_u32 v3, s2, v53
	v_mad_u64_u32 v[1:2], null, s2, v52, 0
	v_mov_b32_e32 v51, 0
	v_lshlrev_b64 v[11:12], 4, v[48:49]
	v_add_nc_u32_e32 v13, 30, v50
	v_add_nc_u32_e32 v25, 0x96, v50
	s_delay_alu instid0(VALU_DEP_4)
	v_dual_mov_b32 v28, v51 :: v_dual_add_nc_u32 v27, 0xb4, v50
	v_add3_u32 v2, v2, v3, v0
	v_lshl_add_u32 v0, v50, 4, v67
	v_mov_b32_e32 v14, v51
	ds_load_b128 v[3:6], v0
	ds_load_b128 v[7:10], v0 offset:480
	v_lshlrev_b64 v[1:2], 4, v[1:2]
	v_lshlrev_b64 v[15:16], 4, v[50:51]
	v_dual_mov_b32 v26, v51 :: v_dual_add_nc_u32 v31, 0x1a4, v50
	v_mov_b32_e32 v32, v51
	s_delay_alu instid0(VALU_DEP_4) | instskip(SKIP_1) | instid1(VALU_DEP_4)
	v_add_co_u32 v1, vcc_lo, s6, v1
	v_add_co_ci_u32_e32 v2, vcc_lo, s7, v2, vcc_lo
	v_lshlrev_b64 v[25:26], 4, v[25:26]
	s_delay_alu instid0(VALU_DEP_3) | instskip(NEXT) | instid1(VALU_DEP_3)
	v_add_co_u32 v1, vcc_lo, v1, v11
	v_add_co_ci_u32_e32 v2, vcc_lo, v2, v12, vcc_lo
	v_lshlrev_b64 v[11:12], 4, v[13:14]
	s_delay_alu instid0(VALU_DEP_3) | instskip(NEXT) | instid1(VALU_DEP_3)
	v_add_co_u32 v13, vcc_lo, v1, v15
	v_add_co_ci_u32_e32 v14, vcc_lo, v2, v16, vcc_lo
	v_dual_mov_b32 v16, v51 :: v_dual_add_nc_u32 v15, 60, v50
	s_delay_alu instid0(VALU_DEP_4)
	v_add_co_u32 v11, vcc_lo, v1, v11
	v_add_co_ci_u32_e32 v12, vcc_lo, v2, v12, vcc_lo
	s_waitcnt lgkmcnt(1)
	global_store_b128 v[13:14], v[3:6], off
	s_waitcnt lgkmcnt(0)
	global_store_b128 v[11:12], v[7:10], off
	v_lshlrev_b64 v[3:4], 4, v[15:16]
	v_dual_mov_b32 v12, v51 :: v_dual_add_nc_u32 v11, 0x5a, v50
	v_dual_mov_b32 v14, v51 :: v_dual_add_nc_u32 v13, 0x78, v50
	v_lshlrev_b64 v[31:32], 4, v[31:32]
	s_delay_alu instid0(VALU_DEP_4)
	v_add_co_u32 v19, vcc_lo, v1, v3
	v_add_co_ci_u32_e32 v20, vcc_lo, v2, v4, vcc_lo
	ds_load_b128 v[3:6], v0 offset:960
	ds_load_b128 v[7:10], v0 offset:1440
	v_lshlrev_b64 v[21:22], 4, v[11:12]
	v_lshlrev_b64 v[23:24], 4, v[13:14]
	ds_load_b128 v[11:14], v0 offset:1920
	ds_load_b128 v[15:18], v0 offset:2400
	v_add_co_u32 v21, vcc_lo, v1, v21
	v_add_co_ci_u32_e32 v22, vcc_lo, v2, v22, vcc_lo
	v_add_co_u32 v23, vcc_lo, v1, v23
	v_add_co_ci_u32_e32 v24, vcc_lo, v2, v24, vcc_lo
	;; [unrolled: 2-line block ×3, first 2 shown]
	s_waitcnt lgkmcnt(3)
	global_store_b128 v[19:20], v[3:6], off
	s_waitcnt lgkmcnt(2)
	global_store_b128 v[21:22], v[7:10], off
	s_waitcnt lgkmcnt(1)
	global_store_b128 v[23:24], v[11:14], off
	s_waitcnt lgkmcnt(0)
	global_store_b128 v[25:26], v[15:18], off
	v_lshlrev_b64 v[3:4], 4, v[27:28]
	v_dual_mov_b32 v12, v51 :: v_dual_add_nc_u32 v11, 0xd2, v50
	v_dual_mov_b32 v14, v51 :: v_dual_add_nc_u32 v13, 0xf0, v50
	;; [unrolled: 1-line block ×3, first 2 shown]
	s_delay_alu instid0(VALU_DEP_4)
	v_add_co_u32 v19, vcc_lo, v1, v3
	v_add_co_ci_u32_e32 v20, vcc_lo, v2, v4, vcc_lo
	ds_load_b128 v[3:6], v0 offset:2880
	ds_load_b128 v[7:10], v0 offset:3360
	v_lshlrev_b64 v[21:22], 4, v[11:12]
	v_lshlrev_b64 v[23:24], 4, v[13:14]
	ds_load_b128 v[11:14], v0 offset:3840
	ds_load_b128 v[15:18], v0 offset:4320
	v_lshlrev_b64 v[25:26], 4, v[25:26]
	v_add_nc_u32_e32 v27, 0x12c, v50
	v_add_co_u32 v21, vcc_lo, v1, v21
	v_add_co_ci_u32_e32 v22, vcc_lo, v2, v22, vcc_lo
	v_add_co_u32 v23, vcc_lo, v1, v23
	v_add_co_ci_u32_e32 v24, vcc_lo, v2, v24, vcc_lo
	;; [unrolled: 2-line block ×3, first 2 shown]
	s_waitcnt lgkmcnt(3)
	global_store_b128 v[19:20], v[3:6], off
	s_waitcnt lgkmcnt(2)
	global_store_b128 v[21:22], v[7:10], off
	;; [unrolled: 2-line block ×4, first 2 shown]
	v_dual_mov_b32 v12, v51 :: v_dual_add_nc_u32 v11, 0x14a, v50
	v_mov_b32_e32 v14, v51
	v_lshlrev_b64 v[3:4], 4, v[27:28]
	v_dual_mov_b32 v20, v51 :: v_dual_add_nc_u32 v13, 0x168, v50
	s_delay_alu instid0(VALU_DEP_4) | instskip(SKIP_1) | instid1(VALU_DEP_4)
	v_lshlrev_b64 v[11:12], 4, v[11:12]
	v_add_nc_u32_e32 v19, 0x186, v50
	v_add_co_u32 v23, vcc_lo, v1, v3
	v_add_co_ci_u32_e32 v24, vcc_lo, v2, v4, vcc_lo
	s_delay_alu instid0(VALU_DEP_4)
	v_add_co_u32 v25, vcc_lo, v1, v11
	ds_load_b128 v[3:6], v0 offset:4800
	ds_load_b128 v[7:10], v0 offset:5280
	v_add_co_ci_u32_e32 v26, vcc_lo, v2, v12, vcc_lo
	v_lshlrev_b64 v[27:28], 4, v[13:14]
	ds_load_b128 v[11:14], v0 offset:5760
	ds_load_b128 v[15:18], v0 offset:6240
	v_lshlrev_b64 v[29:30], 4, v[19:20]
	ds_load_b128 v[19:22], v0 offset:6720
	v_add_co_u32 v27, vcc_lo, v1, v27
	v_add_co_ci_u32_e32 v28, vcc_lo, v2, v28, vcc_lo
	v_add_co_u32 v29, vcc_lo, v1, v29
	v_add_co_ci_u32_e32 v30, vcc_lo, v2, v30, vcc_lo
	;; [unrolled: 2-line block ×3, first 2 shown]
	v_cmp_eq_u32_e32 vcc_lo, 29, v50
	s_waitcnt lgkmcnt(4)
	global_store_b128 v[23:24], v[3:6], off
	s_waitcnt lgkmcnt(3)
	global_store_b128 v[25:26], v[7:10], off
	;; [unrolled: 2-line block ×5, first 2 shown]
	s_and_b32 exec_lo, exec_lo, vcc_lo
	s_cbranch_execz .LBB0_24
; %bb.23:
	ds_load_b128 v[3:6], v0 offset:6736
	v_add_co_u32 v0, vcc_lo, 0x1000, v1
	v_add_co_ci_u32_e32 v1, vcc_lo, 0, v2, vcc_lo
	s_waitcnt lgkmcnt(0)
	global_store_b128 v[0:1], v[3:6], off offset:3104
.LBB0_24:
	s_nop 0
	s_sendmsg sendmsg(MSG_DEALLOC_VGPRS)
	s_endpgm
	.section	.rodata,"a",@progbits
	.p2align	6, 0x0
	.amdhsa_kernel fft_rtc_fwd_len450_factors_10_5_3_3_wgs_120_tpt_30_halfLds_dp_op_CI_CI_unitstride_sbrr_R2C_dirReg
		.amdhsa_group_segment_fixed_size 0
		.amdhsa_private_segment_fixed_size 0
		.amdhsa_kernarg_size 104
		.amdhsa_user_sgpr_count 15
		.amdhsa_user_sgpr_dispatch_ptr 0
		.amdhsa_user_sgpr_queue_ptr 0
		.amdhsa_user_sgpr_kernarg_segment_ptr 1
		.amdhsa_user_sgpr_dispatch_id 0
		.amdhsa_user_sgpr_private_segment_size 0
		.amdhsa_wavefront_size32 1
		.amdhsa_uses_dynamic_stack 0
		.amdhsa_enable_private_segment 0
		.amdhsa_system_sgpr_workgroup_id_x 1
		.amdhsa_system_sgpr_workgroup_id_y 0
		.amdhsa_system_sgpr_workgroup_id_z 0
		.amdhsa_system_sgpr_workgroup_info 0
		.amdhsa_system_vgpr_workitem_id 0
		.amdhsa_next_free_vgpr 166
		.amdhsa_next_free_sgpr 27
		.amdhsa_reserve_vcc 1
		.amdhsa_float_round_mode_32 0
		.amdhsa_float_round_mode_16_64 0
		.amdhsa_float_denorm_mode_32 3
		.amdhsa_float_denorm_mode_16_64 3
		.amdhsa_dx10_clamp 1
		.amdhsa_ieee_mode 1
		.amdhsa_fp16_overflow 0
		.amdhsa_workgroup_processor_mode 1
		.amdhsa_memory_ordered 1
		.amdhsa_forward_progress 0
		.amdhsa_shared_vgpr_count 0
		.amdhsa_exception_fp_ieee_invalid_op 0
		.amdhsa_exception_fp_denorm_src 0
		.amdhsa_exception_fp_ieee_div_zero 0
		.amdhsa_exception_fp_ieee_overflow 0
		.amdhsa_exception_fp_ieee_underflow 0
		.amdhsa_exception_fp_ieee_inexact 0
		.amdhsa_exception_int_div_zero 0
	.end_amdhsa_kernel
	.text
.Lfunc_end0:
	.size	fft_rtc_fwd_len450_factors_10_5_3_3_wgs_120_tpt_30_halfLds_dp_op_CI_CI_unitstride_sbrr_R2C_dirReg, .Lfunc_end0-fft_rtc_fwd_len450_factors_10_5_3_3_wgs_120_tpt_30_halfLds_dp_op_CI_CI_unitstride_sbrr_R2C_dirReg
                                        ; -- End function
	.section	.AMDGPU.csdata,"",@progbits
; Kernel info:
; codeLenInByte = 13132
; NumSgprs: 29
; NumVgprs: 166
; ScratchSize: 0
; MemoryBound: 0
; FloatMode: 240
; IeeeMode: 1
; LDSByteSize: 0 bytes/workgroup (compile time only)
; SGPRBlocks: 3
; VGPRBlocks: 20
; NumSGPRsForWavesPerEU: 29
; NumVGPRsForWavesPerEU: 166
; Occupancy: 9
; WaveLimiterHint : 1
; COMPUTE_PGM_RSRC2:SCRATCH_EN: 0
; COMPUTE_PGM_RSRC2:USER_SGPR: 15
; COMPUTE_PGM_RSRC2:TRAP_HANDLER: 0
; COMPUTE_PGM_RSRC2:TGID_X_EN: 1
; COMPUTE_PGM_RSRC2:TGID_Y_EN: 0
; COMPUTE_PGM_RSRC2:TGID_Z_EN: 0
; COMPUTE_PGM_RSRC2:TIDIG_COMP_CNT: 0
	.text
	.p2alignl 7, 3214868480
	.fill 96, 4, 3214868480
	.type	__hip_cuid_95ca80a6c9d30b36,@object ; @__hip_cuid_95ca80a6c9d30b36
	.section	.bss,"aw",@nobits
	.globl	__hip_cuid_95ca80a6c9d30b36
__hip_cuid_95ca80a6c9d30b36:
	.byte	0                               ; 0x0
	.size	__hip_cuid_95ca80a6c9d30b36, 1

	.ident	"AMD clang version 19.0.0git (https://github.com/RadeonOpenCompute/llvm-project roc-6.4.0 25133 c7fe45cf4b819c5991fe208aaa96edf142730f1d)"
	.section	".note.GNU-stack","",@progbits
	.addrsig
	.addrsig_sym __hip_cuid_95ca80a6c9d30b36
	.amdgpu_metadata
---
amdhsa.kernels:
  - .args:
      - .actual_access:  read_only
        .address_space:  global
        .offset:         0
        .size:           8
        .value_kind:     global_buffer
      - .offset:         8
        .size:           8
        .value_kind:     by_value
      - .actual_access:  read_only
        .address_space:  global
        .offset:         16
        .size:           8
        .value_kind:     global_buffer
      - .actual_access:  read_only
        .address_space:  global
        .offset:         24
        .size:           8
        .value_kind:     global_buffer
      - .actual_access:  read_only
        .address_space:  global
        .offset:         32
        .size:           8
        .value_kind:     global_buffer
      - .offset:         40
        .size:           8
        .value_kind:     by_value
      - .actual_access:  read_only
        .address_space:  global
        .offset:         48
        .size:           8
        .value_kind:     global_buffer
      - .actual_access:  read_only
        .address_space:  global
        .offset:         56
        .size:           8
        .value_kind:     global_buffer
      - .offset:         64
        .size:           4
        .value_kind:     by_value
      - .actual_access:  read_only
        .address_space:  global
        .offset:         72
        .size:           8
        .value_kind:     global_buffer
      - .actual_access:  read_only
        .address_space:  global
        .offset:         80
        .size:           8
        .value_kind:     global_buffer
      - .actual_access:  read_only
        .address_space:  global
        .offset:         88
        .size:           8
        .value_kind:     global_buffer
      - .actual_access:  write_only
        .address_space:  global
        .offset:         96
        .size:           8
        .value_kind:     global_buffer
    .group_segment_fixed_size: 0
    .kernarg_segment_align: 8
    .kernarg_segment_size: 104
    .language:       OpenCL C
    .language_version:
      - 2
      - 0
    .max_flat_workgroup_size: 120
    .name:           fft_rtc_fwd_len450_factors_10_5_3_3_wgs_120_tpt_30_halfLds_dp_op_CI_CI_unitstride_sbrr_R2C_dirReg
    .private_segment_fixed_size: 0
    .sgpr_count:     29
    .sgpr_spill_count: 0
    .symbol:         fft_rtc_fwd_len450_factors_10_5_3_3_wgs_120_tpt_30_halfLds_dp_op_CI_CI_unitstride_sbrr_R2C_dirReg.kd
    .uniform_work_group_size: 1
    .uses_dynamic_stack: false
    .vgpr_count:     166
    .vgpr_spill_count: 0
    .wavefront_size: 32
    .workgroup_processor_mode: 1
amdhsa.target:   amdgcn-amd-amdhsa--gfx1100
amdhsa.version:
  - 1
  - 2
...

	.end_amdgpu_metadata
